;; amdgpu-corpus repo=ROCm/rocFFT kind=compiled arch=gfx1201 opt=O3
	.text
	.amdgcn_target "amdgcn-amd-amdhsa--gfx1201"
	.amdhsa_code_object_version 6
	.protected	bluestein_single_back_len238_dim1_half_op_CI_CI ; -- Begin function bluestein_single_back_len238_dim1_half_op_CI_CI
	.globl	bluestein_single_back_len238_dim1_half_op_CI_CI
	.p2align	8
	.type	bluestein_single_back_len238_dim1_half_op_CI_CI,@function
bluestein_single_back_len238_dim1_half_op_CI_CI: ; @bluestein_single_back_len238_dim1_half_op_CI_CI
; %bb.0:
	s_load_b128 s[4:7], s[0:1], 0x28
	v_mul_u32_u24_e32 v1, 0xf10, v0
	s_mov_b32 s2, exec_lo
	s_delay_alu instid0(VALU_DEP_1) | instskip(NEXT) | instid1(VALU_DEP_1)
	v_lshrrev_b32_e32 v1, 16, v1
	v_mad_co_u64_u32 v[4:5], null, ttmp9, 3, v[1:2]
	v_mov_b32_e32 v5, 0
	s_wait_kmcnt 0x0
	s_delay_alu instid0(VALU_DEP_1)
	v_cmpx_gt_u64_e64 s[4:5], v[4:5]
	s_cbranch_execz .LBB0_15
; %bb.1:
	v_mul_hi_u32 v2, 0xaaaaaaab, v4
	v_mul_lo_u16 v1, v1, 17
	s_clause 0x1
	s_load_b64 s[12:13], s[0:1], 0x0
	s_load_b64 s[14:15], s[0:1], 0x38
	s_delay_alu instid0(VALU_DEP_1) | instskip(NEXT) | instid1(VALU_DEP_3)
	v_sub_nc_u16 v0, v0, v1
	v_lshrrev_b32_e32 v2, 1, v2
	s_delay_alu instid0(VALU_DEP_2) | instskip(SKIP_1) | instid1(VALU_DEP_3)
	v_and_b32_e32 v27, 0xffff, v0
	v_cmp_gt_u16_e32 vcc_lo, 14, v0
	v_lshl_add_u32 v2, v2, 1, v2
	s_delay_alu instid0(VALU_DEP_3) | instskip(SKIP_1) | instid1(VALU_DEP_3)
	v_lshlrev_b32_e32 v24, 2, v27
	v_or_b32_e32 v25, 0x70, v27
	v_sub_nc_u32_e32 v1, v4, v2
	v_or_b32_e32 v23, 0xe0, v27
	s_delay_alu instid0(VALU_DEP_2) | instskip(NEXT) | instid1(VALU_DEP_1)
	v_mul_u32_u24_e32 v26, 0xee, v1
	v_lshlrev_b32_e32 v28, 2, v26
	s_and_saveexec_b32 s3, vcc_lo
	s_cbranch_execz .LBB0_3
; %bb.2:
	s_load_b64 s[4:5], s[0:1], 0x18
	s_wait_kmcnt 0x0
	s_load_b128 s[8:11], s[4:5], 0x0
	s_clause 0x7
	global_load_b32 v14, v24, s[12:13]
	global_load_b32 v15, v24, s[12:13] offset:56
	global_load_b32 v16, v24, s[12:13] offset:112
	;; [unrolled: 1-line block ×7, first 2 shown]
	s_wait_kmcnt 0x0
	v_mad_co_u64_u32 v[0:1], null, s10, v4, 0
	v_mad_co_u64_u32 v[2:3], null, s8, v27, 0
	;; [unrolled: 1-line block ×4, first 2 shown]
	s_mul_u64 s[4:5], s[8:9], 56
	s_delay_alu instid0(VALU_DEP_3) | instskip(NEXT) | instid1(VALU_DEP_4)
	v_mad_co_u64_u32 v[9:10], null, s11, v4, v[1:2]
	v_mad_co_u64_u32 v[10:11], null, s9, v27, v[3:4]
	s_delay_alu instid0(VALU_DEP_3) | instskip(NEXT) | instid1(VALU_DEP_4)
	v_mad_co_u64_u32 v[11:12], null, s9, v25, v[6:7]
	v_mov_b32_e32 v1, v8
	s_delay_alu instid0(VALU_DEP_2) | instskip(NEXT) | instid1(VALU_DEP_2)
	v_dual_mov_b32 v3, v10 :: v_dual_mov_b32 v6, v11
	v_mad_co_u64_u32 v[12:13], null, s9, v23, v[1:2]
	v_mov_b32_e32 v1, v9
	s_delay_alu instid0(VALU_DEP_3) | instskip(NEXT) | instid1(VALU_DEP_4)
	v_lshlrev_b64_e32 v[2:3], 2, v[2:3]
	v_lshlrev_b64_e32 v[5:6], 2, v[5:6]
	s_clause 0x8
	global_load_b32 v13, v24, s[12:13] offset:448
	global_load_b32 v22, v24, s[12:13] offset:504
	;; [unrolled: 1-line block ×9, first 2 shown]
	v_mov_b32_e32 v8, v12
	v_lshlrev_b64_e32 v[0:1], 2, v[0:1]
	s_delay_alu instid0(VALU_DEP_1) | instskip(NEXT) | instid1(VALU_DEP_1)
	v_add_co_u32 v9, s2, s6, v0
	v_add_co_ci_u32_e64 v10, s2, s7, v1, s2
	s_delay_alu instid0(VALU_DEP_4) | instskip(NEXT) | instid1(VALU_DEP_3)
	v_lshlrev_b64_e32 v[0:1], 2, v[7:8]
	v_add_co_u32 v2, s2, v9, v2
	s_wait_alu 0xf1ff
	s_delay_alu instid0(VALU_DEP_3)
	v_add_co_ci_u32_e64 v3, s2, v10, v3, s2
	v_add_co_u32 v5, s2, v9, v5
	s_wait_alu 0xf1ff
	v_add_co_ci_u32_e64 v6, s2, v10, v6, s2
	v_add_co_u32 v0, s2, v9, v0
	s_wait_alu 0xf1ff
	v_add_co_ci_u32_e64 v1, s2, v10, v1, s2
	s_clause 0x2
	global_load_b32 v11, v[2:3], off
	global_load_b32 v12, v[5:6], off
	;; [unrolled: 1-line block ×3, first 2 shown]
	s_wait_alu 0xfffe
	v_add_co_u32 v2, s2, v2, s4
	s_wait_alu 0xf1ff
	v_add_co_ci_u32_e64 v3, s2, s5, v3, s2
	s_delay_alu instid0(VALU_DEP_2) | instskip(SKIP_1) | instid1(VALU_DEP_2)
	v_add_co_u32 v5, s2, v2, s4
	s_wait_alu 0xf1ff
	v_add_co_ci_u32_e64 v6, s2, s5, v3, s2
	global_load_b32 v37, v[2:3], off
	v_add_co_u32 v0, s2, v5, s4
	global_load_b32 v38, v[5:6], off
	s_wait_alu 0xf1ff
	v_add_co_ci_u32_e64 v1, s2, s5, v6, s2
	global_load_b32 v39, v[0:1], off
	v_add_co_u32 v2, s2, v0, s4
	s_wait_alu 0xf1ff
	v_add_co_ci_u32_e64 v3, s2, s5, v1, s2
	s_delay_alu instid0(VALU_DEP_2) | instskip(SKIP_1) | instid1(VALU_DEP_2)
	v_add_co_u32 v7, s2, v2, s4
	s_wait_alu 0xf1ff
	v_add_co_ci_u32_e64 v8, s2, s5, v3, s2
	s_delay_alu instid0(VALU_DEP_2) | instskip(SKIP_1) | instid1(VALU_DEP_2)
	v_add_co_u32 v5, s2, v7, s4
	s_wait_alu 0xf1ff
	v_add_co_ci_u32_e64 v6, s2, s5, v8, s2
	global_load_b32 v40, v[2:3], off
	global_load_b32 v7, v[7:8], off
	v_add_co_u32 v9, s2, v5, s4
	s_wait_alu 0xf1ff
	v_add_co_ci_u32_e64 v10, s2, s5, v6, s2
	s_delay_alu instid0(VALU_DEP_1) | instskip(NEXT) | instid1(VALU_DEP_1)
	v_mad_co_u64_u32 v[0:1], null, 0x70, s8, v[9:10]
	v_mad_co_u64_u32 v[1:2], null, 0x70, s9, v[1:2]
	global_load_b32 v5, v[5:6], off
	global_load_b32 v6, v[9:10], off
	;; [unrolled: 1-line block ×3, first 2 shown]
	v_add_co_u32 v0, s2, v0, s4
	s_wait_alu 0xf1ff
	v_add_co_ci_u32_e64 v1, s2, s5, v1, s2
	s_delay_alu instid0(VALU_DEP_2) | instskip(SKIP_1) | instid1(VALU_DEP_2)
	v_add_co_u32 v2, s2, v0, s4
	s_wait_alu 0xf1ff
	v_add_co_ci_u32_e64 v3, s2, s5, v1, s2
	global_load_b32 v9, v[0:1], off
	v_add_co_u32 v0, s2, v2, s4
	s_wait_alu 0xf1ff
	v_add_co_ci_u32_e64 v1, s2, s5, v3, s2
	global_load_b32 v10, v[2:3], off
	v_add_co_u32 v2, s2, v0, s4
	s_wait_alu 0xf1ff
	v_add_co_ci_u32_e64 v3, s2, s5, v1, s2
	global_load_b32 v41, v[0:1], off
	v_add_co_u32 v0, s2, v2, s4
	s_wait_alu 0xf1ff
	v_add_co_ci_u32_e64 v1, s2, s5, v3, s2
	global_load_b32 v42, v[2:3], off
	v_add_co_u32 v2, s2, v0, s4
	s_wait_alu 0xf1ff
	v_add_co_ci_u32_e64 v3, s2, s5, v1, s2
	global_load_b32 v0, v[0:1], off
	global_load_b32 v1, v[2:3], off
	v_lshl_add_u32 v2, v27, 2, v28
	v_add_nc_u32_e32 v3, v28, v24
	s_wait_loadcnt 0x21
	v_lshrrev_b32_e32 v43, 16, v14
	s_wait_loadcnt 0x20
	v_lshrrev_b32_e32 v44, 16, v15
	;; [unrolled: 2-line block ×18, first 2 shown]
	v_mul_f16_e32 v61, v43, v11
	s_wait_loadcnt 0xf
	v_lshrrev_b32_e32 v62, 16, v12
	v_mul_f16_e32 v63, v51, v12
	s_wait_loadcnt 0xe
	v_lshrrev_b32_e32 v64, 16, v36
	v_mul_f16_e32 v43, v43, v60
	v_fma_f16 v60, v14, v60, -v61
	v_mul_f16_e32 v51, v51, v62
	v_mul_f16_e32 v65, v59, v36
	v_fma_f16 v62, v13, v62, -v63
	v_fmac_f16_e32 v43, v14, v11
	v_mul_f16_e32 v59, v59, v64
	v_fmac_f16_e32 v51, v13, v12
	s_wait_loadcnt 0xd
	v_lshrrev_b32_e32 v61, 16, v37
	v_mul_f16_e32 v66, v44, v37
	v_fma_f16 v63, v35, v64, -v65
	v_fmac_f16_e32 v59, v35, v36
	v_pack_b32_f16 v12, v43, v60
	v_mul_f16_e32 v11, v44, v61
	s_wait_loadcnt 0xc
	v_lshrrev_b32_e32 v44, 16, v38
	v_fma_f16 v14, v15, v61, -v66
	v_mul_f16_e32 v61, v45, v38
	s_wait_loadcnt 0xb
	v_lshrrev_b32_e32 v35, 16, v39
	v_fmac_f16_e32 v11, v15, v37
	v_mul_f16_e32 v13, v45, v44
	v_mul_f16_e32 v36, v46, v39
	v_fma_f16 v15, v16, v44, -v61
	ds_store_b32 v2, v12
	v_pack_b32_f16 v2, v11, v14
	v_fmac_f16_e32 v13, v16, v38
	v_mul_f16_e32 v11, v46, v35
	v_fma_f16 v16, v17, v35, -v36
	v_pack_b32_f16 v37, v51, v62
	s_delay_alu instid0(VALU_DEP_4) | instskip(NEXT) | instid1(VALU_DEP_4)
	v_pack_b32_f16 v13, v13, v15
	v_fmac_f16_e32 v11, v17, v39
	s_wait_loadcnt 0xa
	v_lshrrev_b32_e32 v12, 16, v40
	v_mul_f16_e32 v14, v47, v40
	s_wait_loadcnt 0x9
	v_mul_f16_e32 v17, v48, v7
	ds_store_2addr_b32 v3, v2, v13 offset0:14 offset1:28
	v_pack_b32_f16 v11, v11, v16
	v_mul_f16_e32 v15, v47, v12
	v_fma_f16 v12, v18, v12, -v14
	v_lshrrev_b32_e32 v14, 16, v7
	s_delay_alu instid0(VALU_DEP_3) | instskip(NEXT) | instid1(VALU_DEP_2)
	v_fmac_f16_e32 v15, v18, v40
	v_mul_f16_e32 v13, v48, v14
	v_fma_f16 v14, v19, v14, -v17
	s_delay_alu instid0(VALU_DEP_2)
	v_fmac_f16_e32 v13, v19, v7
	s_wait_loadcnt 0x8
	v_lshrrev_b32_e32 v2, 16, v5
	v_mul_f16_e32 v16, v49, v5
	s_wait_loadcnt 0x7
	v_lshrrev_b32_e32 v7, 16, v6
	v_pack_b32_f16 v13, v13, v14
	v_mul_f16_e32 v18, v49, v2
	v_fma_f16 v2, v20, v2, -v16
	s_delay_alu instid0(VALU_DEP_4) | instskip(NEXT) | instid1(VALU_DEP_3)
	v_mul_f16_e32 v14, v50, v7
	v_fmac_f16_e32 v18, v20, v5
	v_pack_b32_f16 v5, v15, v12
	v_mul_f16_e32 v12, v50, v6
	s_delay_alu instid0(VALU_DEP_4) | instskip(NEXT) | instid1(VALU_DEP_4)
	v_fmac_f16_e32 v14, v21, v6
	v_pack_b32_f16 v2, v18, v2
	ds_store_2addr_b32 v3, v11, v5 offset0:42 offset1:56
	s_wait_loadcnt 0x6
	v_lshrrev_b32_e32 v5, 16, v8
	v_fma_f16 v7, v21, v7, -v12
	s_wait_loadcnt 0x5
	v_lshrrev_b32_e32 v11, 16, v9
	ds_store_2addr_b32 v3, v13, v2 offset0:70 offset1:84
	v_mul_f16_e32 v2, v52, v8
	v_mul_f16_e32 v6, v52, v5
	;; [unrolled: 1-line block ×3, first 2 shown]
	v_pack_b32_f16 v7, v14, v7
	s_delay_alu instid0(VALU_DEP_4) | instskip(NEXT) | instid1(VALU_DEP_4)
	v_fma_f16 v2, v22, v5, -v2
	v_fmac_f16_e32 v6, v22, v8
	v_mul_f16_e32 v5, v53, v11
	v_fma_f16 v8, v29, v11, -v12
	s_wait_loadcnt 0x4
	v_lshrrev_b32_e32 v11, 16, v10
	v_mul_f16_e32 v12, v54, v10
	v_pack_b32_f16 v2, v6, v2
	v_fmac_f16_e32 v5, v29, v9
	s_wait_loadcnt 0x3
	v_lshrrev_b32_e32 v6, 16, v41
	v_mul_f16_e32 v9, v54, v11
	v_fma_f16 v11, v30, v11, -v12
	v_mul_f16_e32 v12, v55, v41
	v_pack_b32_f16 v5, v5, v8
	v_mul_f16_e32 v8, v55, v6
	v_fmac_f16_e32 v9, v30, v10
	s_wait_loadcnt 0x2
	v_lshrrev_b32_e32 v10, 16, v42
	v_fma_f16 v6, v31, v6, -v12
	v_mul_f16_e32 v12, v56, v42
	s_wait_loadcnt 0x1
	v_lshrrev_b32_e32 v13, 16, v0
	s_wait_loadcnt 0x0
	v_lshrrev_b32_e32 v15, 16, v1
	v_mul_f16_e32 v14, v56, v10
	v_mul_f16_e32 v17, v58, v1
	v_fma_f16 v10, v32, v10, -v12
	v_mul_f16_e32 v12, v57, v0
	v_mul_f16_e32 v16, v57, v13
	;; [unrolled: 1-line block ×3, first 2 shown]
	v_fmac_f16_e32 v8, v31, v41
	v_fmac_f16_e32 v14, v32, v42
	v_fma_f16 v12, v33, v13, -v12
	v_fmac_f16_e32 v16, v33, v0
	v_fma_f16 v0, v34, v15, -v17
	v_fmac_f16_e32 v18, v34, v1
	v_pack_b32_f16 v1, v9, v11
	v_pack_b32_f16 v6, v8, v6
	;; [unrolled: 1-line block ×6, first 2 shown]
	ds_store_2addr_b32 v3, v7, v37 offset0:98 offset1:112
	ds_store_2addr_b32 v3, v2, v5 offset0:126 offset1:140
	;; [unrolled: 1-line block ×5, first 2 shown]
.LBB0_3:
	s_or_b32 exec_lo, exec_lo, s3
	s_clause 0x1
	s_load_b64 s[2:3], s[0:1], 0x20
	s_load_b64 s[0:1], s[0:1], 0x8
	v_mov_b32_e32 v9, 0
	global_wb scope:SCOPE_SE
	s_wait_dscnt 0x0
	s_wait_kmcnt 0x0
	s_barrier_signal -1
	s_barrier_wait -1
	global_inv scope:SCOPE_SE
                                        ; implicit-def: $vgpr19
                                        ; implicit-def: $vgpr1
                                        ; implicit-def: $vgpr3
                                        ; implicit-def: $vgpr8
                                        ; implicit-def: $vgpr12
                                        ; implicit-def: $vgpr14
                                        ; implicit-def: $vgpr16
                                        ; implicit-def: $vgpr18
                                        ; implicit-def: $vgpr46
	s_and_saveexec_b32 s4, vcc_lo
	s_cbranch_execz .LBB0_5
; %bb.4:
	v_lshl_add_u32 v5, v26, 2, v24
	ds_load_2addr_b32 v[9:10], v5 offset1:14
	ds_load_2addr_b32 v[17:18], v5 offset0:28 offset1:42
	ds_load_2addr_b32 v[15:16], v5 offset0:56 offset1:70
	;; [unrolled: 1-line block ×7, first 2 shown]
	ds_load_b32 v19, v5 offset:896
	s_wait_dscnt 0x7
	v_alignbit_b32 v46, v17, v17, 16
.LBB0_5:
	s_wait_alu 0xfffe
	s_or_b32 exec_lo, exec_lo, s4
	s_wait_dscnt 0x0
	v_pk_add_f16 v17, v10, v19 neg_lo:[0,1] neg_hi:[0,1]
	v_pk_add_f16 v22, v46, v1 op_sel:[1,0] op_sel_hi:[0,1] neg_lo:[0,1] neg_hi:[0,1]
	v_pk_add_f16 v21, v19, v10
	v_pk_add_f16 v20, v1, v46 op_sel:[1,0] op_sel_hi:[0,1]
	v_pk_add_f16 v34, v18, v0 neg_lo:[0,1] neg_hi:[0,1]
	v_lshrrev_b32_e32 v108, 16, v17
	v_lshrrev_b32_e32 v107, 16, v22
	;; [unrolled: 1-line block ×3, first 2 shown]
	v_mul_f16_e32 v50, 0xb964, v17
	v_lshrrev_b32_e32 v62, 16, v20
	v_mul_f16_e32 v41, 0xb5c8, v108
	v_mul_f16_e32 v60, 0xbb29, v108
	;; [unrolled: 1-line block ×3, first 2 shown]
	v_lshrrev_b32_e32 v110, 16, v34
	v_lshrrev_b32_e32 v45, 16, v9
	v_fmamk_f16 v6, v21, 0x3b76, v41
	v_fma_f16 v29, v63, 0x39e9, -v50
	v_fmamk_f16 v31, v21, 0x3722, v60
	v_fmamk_f16 v32, v62, 0x39e9, v42
	v_mul_f16_e32 v59, 0xbbf7, v22
	v_add_f16_e32 v6, v6, v9
	v_mul_f16_e32 v64, 0xba62, v107
	v_pk_add_f16 v35, v0, v18
	v_mul_f16_e32 v44, 0xbb29, v110
	v_mul_f16_e32 v65, 0xbb29, v17
	v_add_f16_e32 v29, v29, v45
	v_add_f16_e32 v31, v31, v9
	;; [unrolled: 1-line block ×3, first 2 shown]
	v_fma_f16 v33, v20, 0x2de8, -v59
	v_fmamk_f16 v36, v62, 0xb8d2, v64
	v_fmamk_f16 v38, v35, 0x3722, v44
	v_lshrrev_b32_e32 v67, 16, v35
	v_mul_f16_e32 v54, 0xba62, v34
	v_fma_f16 v30, v63, 0x3722, -v65
	v_mul_f16_e32 v69, 0xba62, v22
	v_add_f16_e32 v29, v33, v29
	v_add_f16_e32 v31, v36, v31
	v_pk_add_f16 v36, v15, v3 neg_lo:[0,1] neg_hi:[0,1]
	v_add_f16_e32 v6, v38, v6
	v_fma_f16 v38, v67, 0xb8d2, -v54
	v_add_f16_e32 v30, v30, v45
	v_fma_f16 v37, v20, 0xb8d2, -v69
	v_lshrrev_b32_e32 v111, 16, v36
	v_mul_f16_e32 v66, 0x31e1, v110
	v_add_f16_e32 v29, v38, v29
	v_pk_add_f16 v38, v16, v2 neg_lo:[0,1] neg_hi:[0,1]
	v_pk_mul_f16 v5, 0x3b7639e9, v21
	v_add_f16_e32 v30, v37, v30
	v_pk_add_f16 v37, v3, v15
	v_mul_f16_e32 v48, 0xbbf7, v111
	v_fmamk_f16 v40, v35, 0xbbdd, v66
	v_lshrrev_b32_e32 v113, 16, v38
	v_mul_f16_e32 v71, 0x3bb2, v111
	v_pk_fma_f16 v39, 0xb964b5c8, v17, v5 op_sel:[0,0,1] op_sel_hi:[1,1,0]
	v_pk_mul_f16 v32, 0xbbf7b964, v22
	v_mul_f16_e32 v75, 0x31e1, v34
	v_fmamk_f16 v51, v37, 0x2de8, v48
	v_add_f16_e32 v31, v40, v31
	v_pk_add_f16 v40, v2, v16
	v_mul_f16_e32 v55, 0xbbb2, v113
	v_fmamk_f16 v52, v37, 0xb461, v71
	v_pk_fma_f16 v43, 0x2de839e9, v20, v32
	v_pk_mul_f16 v33, 0x3722b8d2, v35
	v_fma_f16 v49, v67, 0xbbdd, -v75
	v_add_f16_e32 v6, v51, v6
	v_lshrrev_b32_e32 v72, 16, v37
	v_mul_f16_e32 v77, 0x3bb2, v36
	v_fmamk_f16 v56, v40, 0xb461, v55
	v_add_f16_e32 v31, v52, v31
	v_lshrrev_b32_e32 v52, 16, v39
	v_pk_fma_f16 v47, 0xba62bb29, v34, v33 op_sel:[0,0,1] op_sel_hi:[1,1,0]
	v_add_f16_e32 v30, v49, v30
	v_mul_f16_e32 v61, 0xb1e1, v36
	v_pk_mul_f16 v88, 0x2de8bbdd, v37
	v_fma_f16 v53, v72, 0xb461, -v77
	v_add_f16_e32 v84, v56, v6
	v_mul_f16_e32 v81, 0x3964, v113
	v_add_f16_e32 v6, v52, v9
	v_lshrrev_b32_e32 v52, 16, v43
	v_fma_f16 v49, v72, 0xbbdd, -v61
	v_pk_fma_f16 v51, 0xb1e1bbf7, v36, v88 op_sel:[0,0,1] op_sel_hi:[1,1,0]
	v_add_f16_e32 v30, v53, v30
	v_pk_mul_f16 v90, 0xb461bacd, v40
	v_fmamk_f16 v56, v40, 0x39e9, v81
	v_pk_add_f16 v53, v8, v13
	v_add_f16_e32 v6, v52, v6
	v_lshrrev_b32_e32 v52, 16, v47
	v_add_f16_e32 v29, v49, v29
	v_pk_add_f16 v49, v13, v8 neg_lo:[0,1] neg_hi:[0,1]
	v_pk_fma_f16 v68, 0x3836bbb2, v38, v90 op_sel:[0,0,1] op_sel_hi:[1,1,0]
	v_add_f16_e32 v31, v56, v31
	v_pk_mul_f16 v91, 0xb8d2b461, v53
	v_add_f16_e32 v6, v52, v6
	v_lshrrev_b32_e32 v56, 16, v51
	v_pk_add_f16 v57, v7, v14
	v_pk_add_f16 v52, v14, v7 neg_lo:[0,1] neg_hi:[0,1]
	v_pk_fma_f16 v70, 0x3bb2ba62, v49, v91 op_sel:[0,0,1] op_sel_hi:[1,1,0]
	v_lshrrev_b32_e32 v73, 16, v68
	v_add_f16_e32 v6, v56, v6
	v_pk_mul_f16 v92, 0xbacd3722, v57
	v_pk_add_f16 v58, v12, v11
	v_lshrrev_b32_e32 v123, 16, v49
	v_pk_add_f16 v56, v11, v12 neg_lo:[0,1] neg_hi:[0,1]
	v_add_f16_e32 v6, v73, v6
	v_lshrrev_b32_e32 v74, 16, v70
	v_pk_fma_f16 v73, 0x3b29b836, v52, v92 op_sel:[0,0,1] op_sel_hi:[1,1,0]
	v_pk_mul_f16 v93, 0xbbdd3b76, v58
	v_mul_f16_e32 v76, 0xb5c8, v123
	v_lshrrev_b32_e32 v125, 16, v52
	v_add_f16_e32 v6, v74, v6
	v_lshrrev_b32_e32 v80, 16, v73
	v_pk_fma_f16 v74, 0x35c8b1e1, v56, v93 op_sel:[0,0,1] op_sel_hi:[1,1,0]
	v_lshrrev_b32_e32 v96, 16, v40
	v_mul_f16_e32 v82, 0x3836, v38
	v_fmamk_f16 v78, v53, 0x3b76, v76
	v_mul_f16_e32 v79, 0xbbf7, v125
	v_add_f16_e32 v6, v80, v6
	v_lshrrev_b32_e32 v80, 16, v74
	v_mul_f16_e32 v102, 0x3964, v38
	v_fma_f16 v85, v96, 0xbacd, -v82
	v_add_f16_e32 v31, v78, v31
	v_fmamk_f16 v83, v57, 0x2de8, v79
	v_add_f16_e32 v6, v80, v6
	v_mul_f16_e32 v80, 0xba62, v123
	v_lshrrev_b32_e32 v99, 16, v53
	v_fma_f16 v86, v96, 0x39e9, -v102
	v_add_f16_e32 v29, v85, v29
	v_mul_f16_e32 v104, 0xb5c8, v49
	v_pk_fma_f16 v85, 0xb964b5c8, v17, v5 op_sel:[0,0,1] op_sel_hi:[1,1,0] neg_lo:[0,1,0] neg_hi:[0,1,0]
	v_add_f16_e32 v31, v83, v31
	v_mul_f16_e32 v83, 0x3bb2, v49
	v_fmamk_f16 v87, v53, 0xb8d2, v80
	v_add_f16_e32 v30, v86, v30
	v_fma_f16 v5, v99, 0x3b76, -v104
	v_pk_fma_f16 v86, 0x2de839e9, v20, v32 neg_lo:[0,0,1] neg_hi:[0,0,1]
	v_add_f16_e32 v32, v85, v45
	v_fma_f16 v89, v99, 0xb461, -v83
	v_add_f16_e32 v95, v87, v84
	v_add_f16_e32 v5, v5, v30
	v_pk_fma_f16 v87, 0xba62bb29, v34, v33 op_sel:[0,0,1] op_sel_hi:[1,1,0] neg_lo:[0,1,0] neg_hi:[0,1,0]
	v_add_f16_e32 v30, v86, v32
	v_add_f16_e32 v29, v89, v29
	v_lshrrev_b32_e32 v101, 16, v57
	v_mul_f16_e32 v94, 0x3b29, v52
	v_mul_f16_e32 v105, 0xbbf7, v52
	v_pk_fma_f16 v89, 0xb1e1bbf7, v36, v88 op_sel:[0,0,1] op_sel_hi:[1,1,0] neg_lo:[0,1,0] neg_hi:[0,1,0]
	v_add_f16_e32 v30, v87, v30
	v_mul_f16_e32 v84, 0xb836, v125
	v_fma_f16 v33, v101, 0x3722, -v94
	v_fma_f16 v88, v101, 0x2de8, -v105
	v_pk_fma_f16 v90, 0x3836bbb2, v38, v90 op_sel:[0,0,1] op_sel_hi:[1,1,0] neg_lo:[0,1,0] neg_hi:[0,1,0]
	v_add_f16_e32 v30, v89, v30
	v_lshrrev_b32_e32 v116, 16, v56
	v_fmamk_f16 v32, v57, 0xbacd, v84
	v_add_f16_e32 v29, v33, v29
	v_add_f16_e32 v33, v88, v5
	v_pk_fma_f16 v91, 0x3bb2ba62, v49, v91 op_sel:[0,0,1] op_sel_hi:[1,1,0] neg_lo:[0,1,0] neg_hi:[0,1,0]
	v_add_f16_e32 v5, v90, v30
	v_mul_f16_e32 v78, 0xb836, v116
	v_add_f16_e32 v32, v32, v95
	v_mul_f16_e32 v88, 0xb1e1, v116
	v_lshrrev_b32_e32 v98, 16, v58
	v_mul_f16_e32 v95, 0x35c8, v56
	v_mul_f16_e32 v97, 0xb836, v56
	v_pk_fma_f16 v92, 0x3b29b836, v52, v92 op_sel:[0,0,1] op_sel_hi:[1,1,0] neg_lo:[0,1,0] neg_hi:[0,1,0]
	v_add_f16_e32 v5, v91, v5
	v_fmamk_f16 v100, v58, 0xbacd, v78
	v_fmamk_f16 v30, v58, 0xbbdd, v88
	v_fma_f16 v103, v98, 0x3b76, -v95
	v_fma_f16 v106, v98, 0xbacd, -v97
	v_pk_fma_f16 v93, 0x35c8b1e1, v56, v93 op_sel:[0,0,1] op_sel_hi:[1,1,0] neg_lo:[0,1,0] neg_hi:[0,1,0]
	v_add_f16_e32 v109, v92, v5
	v_add_f16_e32 v5, v100, v31
	;; [unrolled: 1-line block ×6, first 2 shown]
	v_mul_lo_u16 v29, v27, 17
	global_wb scope:SCOPE_SE
	s_barrier_signal -1
	s_barrier_wait -1
	global_inv scope:SCOPE_SE
	s_and_saveexec_b32 s4, vcc_lo
	s_cbranch_execz .LBB0_7
; %bb.6:
	v_mul_f16_e32 v120, 0x2de8, v63
	v_mul_f16_e32 v115, 0xbbf7, v108
	;; [unrolled: 1-line block ×5, first 2 shown]
	v_fmamk_f16 v100, v17, 0x3bf7, v120
	v_fmamk_f16 v103, v21, 0x2de8, v115
	v_mul_f16_e32 v118, 0x3bb2, v110
	v_fmamk_f16 v106, v22, 0x31e1, v126
	v_fmamk_f16 v109, v62, 0xbbdd, v114
	v_add_f16_e32 v100, v100, v45
	v_add_f16_e32 v103, v103, v9
	v_mul_f16_e32 v124, 0x3b76, v72
	v_mul_f16_e32 v117, 0x35c8, v111
	v_fmamk_f16 v112, v34, 0xbbb2, v121
	v_add_f16_e32 v100, v106, v100
	v_fmamk_f16 v106, v35, 0xb461, v118
	v_add_f16_e32 v103, v109, v103
	v_mul_f16_e32 v127, 0x3722, v96
	v_fmamk_f16 v109, v36, 0xb5c8, v124
	v_add_f16_e32 v100, v112, v100
	v_mul_f16_e32 v119, 0xbb29, v113
	v_fmamk_f16 v112, v37, 0x3b76, v117
	v_add_f16_e32 v103, v106, v103
	v_fmamk_f16 v106, v38, 0x3b29, v127
	v_add_f16_e32 v100, v109, v100
	v_mul_f16_e64 v128, 0xbacd, v99
	v_fmamk_f16 v109, v40, 0x3722, v119
	v_add_f16_e32 v103, v112, v103
	v_mul_f16_e32 v122, 0xb836, v123
	v_add_f16_e32 v100, v106, v100
	v_fma_f16 v106, 0x3836, v49, v128
	v_mul_f16_e64 v130, 0xb8d2, v101
	v_add_f16_e32 v103, v109, v103
	v_fmamk_f16 v109, v53, 0xbacd, v122
	v_mul_f16_e64 v129, 0xb461, v63
	v_add_f16_e32 v100, v106, v100
	v_mul_f16_e64 v132, 0x3a62, v125
	v_mul_f16_e64 v131, 0xbacd, v20
	v_add_f16_e32 v103, v109, v103
	v_fma_f16 v109, 0xba62, v52, v130
	v_fma_f16 v106, 0x3bb2, v17, v129
	v_mul_f16_e64 v134, 0x39e9, v98
	v_fma_f16 v112, 0xb836, v22, v131
	v_mul_f16_e64 v133, 0x39e9, v67
	v_add_f16_e32 v100, v109, v100
	v_fma_f16 v109, 0xb8d2, v57, v132
	v_add_f16_e32 v106, v106, v45
	v_mul_f16_e64 v136, 0x3964, v116
	v_mul_f16_e64 v135, 0x3722, v72
	;; [unrolled: 1-line block ×3, first 2 shown]
	v_add_f16_e32 v103, v109, v103
	v_fma_f16 v109, 0xb964, v56, v134
	v_add_f16_e32 v106, v112, v106
	v_fma_f16 v112, 0xb964, v34, v133
	v_mul_f16_e64 v137, 0xbbdd, v96
	v_mul_f16_e64 v140, 0x3836, v107
	v_add_f16_e32 v100, v109, v100
	v_fma_f16 v109, 0x39e9, v58, v136
	v_add_f16_e32 v106, v112, v106
	v_fma_f16 v112, 0x3b29, v36, v135
	v_mul_f16_e64 v139, 0x2de8, v99
	v_fma_f16 v142, 0xbacd, v62, v140
	v_add_f16_e32 v103, v109, v103
	v_fma_f16 v109, 0xb461, v21, v138
	v_add_f16_e32 v106, v112, v106
	v_fma_f16 v112, 0x31e1, v38, v137
	v_mul_f16_e64 v143, 0x3964, v110
	v_mul_f16_e64 v141, 0x3b76, v101
	v_add_f16_e32 v109, v109, v9
	v_mul_f16_e64 v145, 0xbb29, v111
	v_add_f16_e32 v106, v112, v106
	v_fma_f16 v112, 0xbbf7, v49, v139
	v_mul_f16_e64 v144, 0xb8d2, v98
	v_add_f16_e64 v109, v142, v109
	v_fma_f16 v142, 0x39e9, v35, v143
	v_mul_f16_e64 v147, 0xb1e1, v113
	v_add_f16_e32 v106, v112, v106
	v_fma_f16 v112, 0x35c8, v52, v141
	v_mul_f16_e64 v146, 0xb8d2, v63
	v_add_f16_e64 v109, v142, v109
	v_fma_f16 v142, 0x3722, v37, v145
	;; [unrolled: 6-line block ×3, first 2 shown]
	v_mul_f16_e64 v152, 0xb5c8, v125
	v_add_f16_e32 v106, v112, v106
	v_fma_f16 v112, 0x3a62, v17, v146
	v_fma_f16 v150, 0xbbb2, v22, v148
	v_add_f16_e64 v109, v142, v109
	v_fma_f16 v142, 0x2de8, v53, v149
	v_mul_f16_e64 v151, 0x3b76, v67
	v_add_f16_e32 v112, v112, v45
	v_mul_f16_e64 v154, 0xba62, v116
	v_mul_f16_e64 v153, 0xbacd, v72
	v_add_f16_e64 v109, v142, v109
	v_fma_f16 v142, 0x3b76, v57, v152
	v_add_f16_e64 v112, v150, v112
	v_fma_f16 v150, 0x35c8, v34, v151
	v_mul_f16_e64 v156, 0xba62, v108
	v_mul_f16_e64 v155, 0x2de8, v96
	v_add_f16_e64 v109, v142, v109
	v_fma_f16 v142, 0xb8d2, v58, v154
	v_add_f16_e64 v112, v150, v112
	v_fma_f16 v150, 0x3836, v36, v153
	;; [unrolled: 6-line block ×3, first 2 shown]
	v_fma_f16 v160, 0xb461, v62, v158
	v_mul_f16_e64 v161, 0xb5c8, v110
	v_add_f16_e64 v142, v142, v9
	v_mul_f16_e64 v159, 0xbbdd, v101
	v_add_f16_e64 v112, v150, v112
	v_fma_f16 v150, 0x3964, v49, v157
	v_mul_f16_e64 v163, 0xb836, v111
	v_add_f16_e64 v142, v160, v142
	v_fma_f16 v160, 0x3b76, v35, v161
	;; [unrolled: 3-line block ×8, first 2 shown]
	v_fma_f16 v168, 0xbb29, v22, v166
	v_add_f16_e64 v150, v150, v45
	v_mul_f16_e64 v169, 0x2de8, v67
	v_mul_f16_e64 v172, 0xb836, v108
	v_add_f16_e64 v142, v160, v142
	v_fma_f16 v160, 0xbbdd, v57, v170
	v_add_f16_e64 v150, v168, v150
	v_fma_f16 v168, 0x3bf7, v34, v169
	v_mul_f16_e64 v171, 0xb8d2, v72
	v_mul_f16_e64 v173, 0x3b29, v107
	v_add_f16_e64 v142, v160, v142
	v_fma_f16 v160, 0xbacd, v21, v172
	v_add_f16_e64 v108, v168, v150
	v_fma_f16 v150, 0xba62, v36, v171
	v_mul_f16_e64 v168, 0x3b76, v96
	v_fma_f16 v174, 0x3722, v62, v173
	v_add_f16_e64 v160, v160, v9
	v_mul_f16_e32 v110, 0xbbf7, v110
	v_add_f16_e64 v107, v150, v108
	v_fma_f16 v108, 0x35c8, v38, v168
	v_mul_f16_e64 v150, 0xbbdd, v99
	v_add_f16_e64 v160, v174, v160
	v_fma_f16 v174, 0x2de8, v35, v110
	v_mul_f16_e32 v111, 0x3a62, v111
	v_add_f16_e32 v107, v108, v107
	v_fma_f16 v108, 0x31e1, v49, v150
	v_mul_f16_e64 v175, 0x39e9, v101
	v_mul_f16_e64 v176, 0x3b29, v116
	v_add_f16_e64 v160, v174, v160
	v_fma_f16 v174, 0xb8d2, v37, v111
	v_mul_f16_e32 v113, 0xb5c8, v113
	v_add_f16_e32 v107, v108, v107
	v_fma_f16 v108, 0xb964, v52, v175
	v_fma_f16 v177, 0x3722, v58, v176
	v_add_f16_e64 v160, v174, v160
	v_fma_f16 v174, 0x3b76, v40, v113
	v_mul_f16_e32 v123, 0xb1e1, v123
	v_fmac_f16_e64 v164, 0xb836, v17
	v_add_f16_e32 v108, v108, v107
	v_add_f16_e64 v107, v177, v142
	v_add_f16_e64 v142, v174, v160
	v_fma_f16 v160, 0xbbdd, v53, v123
	v_add_f16_e64 v164, v164, v45
	v_fmac_f16_e64 v166, 0x3b29, v22
	v_fmac_f16_e64 v169, 0xbbf7, v34
	;; [unrolled: 1-line block ×3, first 2 shown]
	v_add_f16_e64 v142, v160, v142
	v_fma_f16 v160, v21, 0xbacd, -v172
	v_add_f16_e64 v164, v166, v164
	v_fma_f16 v166, v62, 0x3722, -v173
	v_fma_f16 v110, v35, 0x2de8, -v110
	v_fmac_f16_e64 v146, 0xba62, v17
	v_add_f16_e64 v160, v160, v9
	v_add_f16_e64 v164, v169, v164
	v_fmac_f16_e64 v168, 0xb5c8, v38
	v_fma_f16 v111, v37, 0xb8d2, -v111
	v_add_f16_e64 v146, v146, v45
	v_add_f16_e64 v160, v166, v160
	;; [unrolled: 1-line block ×3, first 2 shown]
	v_fmac_f16_e64 v148, 0x3bb2, v22
	v_fmac_f16_e64 v150, 0xb1e1, v49
	;; [unrolled: 1-line block ×3, first 2 shown]
	v_add_f16_e64 v110, v110, v160
	v_add_f16_e64 v160, v168, v164
	v_fmac_f16_e64 v175, 0x3964, v52
	v_mul_f16_e32 v125, 0x3964, v125
	v_fmac_f16_e64 v153, 0xb836, v36
	v_add_f16_e32 v110, v111, v110
	v_fma_f16 v111, v40, 0x3b76, -v113
	v_add_f16_e64 v113, v148, v146
	v_add_f16_e64 v146, v150, v160
	v_fma_f16 v172, 0x39e9, v57, v125
	v_mul_f16_e32 v116, 0xbbb2, v116
	v_add_f16_e32 v110, v111, v110
	v_fma_f16 v111, v53, 0xbbdd, -v123
	v_add_f16_e64 v113, v151, v113
	v_add_f16_e64 v123, v175, v146
	v_fma_f16 v146, v21, 0xb8d2, -v156
	v_add_f16_e64 v142, v172, v142
	v_add_f16_e32 v110, v111, v110
	v_add_f16_e64 v111, v153, v113
	v_fma_f16 v113, v57, 0x39e9, -v125
	v_add_f16_e64 v125, v146, v9
	v_fma_f16 v146, v62, 0xb461, -v158
	v_fma_f16 v172, 0xb461, v58, v116
	v_fma_f16 v116, v58, 0xb461, -v116
	v_add_f16_e32 v110, v113, v110
	v_fmac_f16_e64 v129, 0xbbb2, v17
	v_add_f16_e64 v113, v146, v125
	v_fma_f16 v125, v35, 0x3b76, -v161
	v_fmac_f16_e64 v131, 0x3836, v22
	v_add_f16_e32 v110, v116, v110
	v_add_f16_e64 v116, v129, v45
	v_fma_f16 v129, v21, 0xb461, -v138
	v_add_f16_e32 v113, v125, v113
	v_fma_f16 v125, v37, 0xbacd, -v163
	v_fmac_f16_e32 v120, 0xbbf7, v17
	v_add_f16_e64 v116, v131, v116
	v_add_f16_e64 v129, v129, v9
	v_fma_f16 v131, v62, 0xbacd, -v140
	v_add_f16_e32 v113, v125, v113
	v_fma_f16 v125, v40, 0x2de8, -v165
	v_add_f16_e32 v120, v120, v45
	v_fmac_f16_e32 v126, 0xb1e1, v22
	v_add_f16_e64 v129, v131, v129
	v_fma_f16 v131, v35, 0x39e9, -v143
	v_add_f16_e32 v113, v125, v113
	v_fma_f16 v125, v53, 0x39e9, -v167
	v_add_f16_e32 v120, v126, v120
	v_fmac_f16_e32 v121, 0x3bb2, v34
	v_fma_f16 v115, v21, 0x2de8, -v115
	v_fmac_f16_e32 v124, 0x35c8, v36
	v_add_f16_e32 v113, v125, v113
	v_fma_f16 v125, v57, 0xbbdd, -v170
	v_add_f16_e32 v120, v121, v120
	v_add_f16_e32 v115, v115, v9
	v_fma_f16 v114, v62, 0xbbdd, -v114
	v_fma_f16 v126, v57, 0x3b76, -v152
	v_add_f16_e32 v113, v125, v113
	v_add_f16_e64 v125, v131, v129
	v_fma_f16 v129, v37, 0x3722, -v145
	v_add_f16_e32 v120, v124, v120
	v_fmac_f16_e32 v127, 0xbb29, v38
	v_add_f16_e32 v114, v114, v115
	v_fma_f16 v115, v35, 0xb461, -v118
	v_add_f16_e64 v125, v129, v125
	v_fma_f16 v129, v40, 0xbbdd, -v147
	v_fma_f16 v124, v58, 0xb8d2, -v154
	v_add_f16_e32 v118, v127, v120
	v_fmac_f16_e64 v128, 0xb836, v49
	v_add_f16_e32 v114, v115, v114
	v_add_f16_e64 v125, v129, v125
	v_fma_f16 v129, v53, 0x2de8, -v149
	v_mul_f16_e32 v115, 0x3722, v63
	v_fma_f16 v117, v37, 0x3b76, -v117
	v_add_f16_e64 v118, v128, v118
	v_fmac_f16_e64 v130, 0x3a62, v52
	v_add_f16_e64 v125, v129, v125
	v_add_f16_e32 v65, v65, v115
	v_add_f16_e32 v114, v117, v114
	v_fma_f16 v115, v40, 0x3722, -v119
	v_add_f16_e64 v117, v130, v118
	v_add_f16_e32 v121, v126, v125
	v_add_f16_e32 v65, v65, v45
	v_mul_f16_e32 v118, 0xbbdd, v67
	v_add_f16_e32 v114, v115, v114
	v_fma_f16 v115, v53, 0xbacd, -v122
	v_add_f16_e32 v120, v124, v121
	v_mul_f16_e32 v121, 0xb8d2, v20
	v_alignbit_b32 v46, v46, v46, 16
	v_mul_f16_e32 v63, 0x39e9, v63
	v_add_f16_e32 v114, v115, v114
	v_fma_f16 v115, v57, 0xb8d2, -v132
	v_add_f16_e32 v69, v69, v121
	v_mul_f16_e32 v67, 0xb8d2, v67
	v_add_f16_e32 v50, v50, v63
	v_mul_f16_e32 v63, 0xbacd, v57
	v_mul_f16_e64 v178, 0xb461, v98
	v_add_f16_e32 v65, v69, v65
	v_add_f16_e32 v69, v75, v118
	v_mul_f16_e32 v75, 0xb461, v72
	v_add_f16_e32 v45, v50, v45
	v_mul_f16_e32 v72, 0xbbdd, v72
	v_mul_f16_e32 v50, 0xbbdd, v58
	v_add_f16_e32 v65, v69, v65
	v_add_f16_e32 v69, v77, v75
	v_alignbit_b32 v75, v9, v9, 16
	v_add_f16_e32 v77, v115, v114
	v_mul_f16_e32 v114, 0x39e9, v96
	v_fma_f16 v115, v58, 0x39e9, -v136
	v_add_f16_e32 v65, v69, v65
	v_pk_add_f16 v10, v10, v75 op_sel:[0,1] op_sel_hi:[1,0]
	v_mul_f16_e32 v69, 0x3b76, v21
	v_add_f16_e32 v102, v102, v114
	v_mul_f16_e32 v114, 0x3b76, v99
	v_add_f16_e32 v77, v115, v77
	v_pk_add_f16 v10, v46, v10
	v_mul_f16_e32 v115, 0x3722, v21
	v_add_f16_e32 v65, v102, v65
	v_add_f16_e32 v104, v104, v114
	v_mul_f16_e32 v114, 0x2de8, v20
	v_pk_add_f16 v10, v18, v10
	v_mul_f16_e32 v102, 0x39e9, v62
	v_sub_f16_e32 v60, v115, v60
	v_add_f16_e32 v46, v54, v67
	v_add_f16_e32 v59, v59, v114
	v_pk_add_f16 v10, v15, v10
	v_sub_f16_e32 v15, v69, v41
	v_mul_f16_e32 v62, 0xb8d2, v62
	v_mul_f16_e32 v115, 0x3722, v35
	v_add_f16_e32 v45, v59, v45
	v_pk_add_f16 v10, v16, v10
	v_add_f16_e32 v65, v104, v65
	v_mul_f16_e32 v104, 0x2de8, v101
	v_add_f16_e32 v60, v60, v9
	v_mul_f16_e32 v96, 0xbacd, v96
	v_pk_add_f16 v10, v13, v10
	v_add_f16_e32 v18, v46, v45
	v_add_f16_e32 v45, v61, v72
	;; [unrolled: 1-line block ×3, first 2 shown]
	v_sub_f16_e32 v15, v102, v42
	v_pk_add_f16 v10, v14, v10
	v_sub_f16_e32 v62, v62, v64
	v_mul_f16_e32 v64, 0xbbdd, v35
	v_add_f16_e32 v104, v105, v104
	v_mul_f16_e32 v105, 0x2de8, v37
	v_pk_add_f16 v10, v11, v10
	v_mul_f16_e32 v99, 0xb461, v99
	v_add_f16_e32 v18, v45, v18
	v_add_f16_e32 v41, v82, v96
	;; [unrolled: 1-line block ×3, first 2 shown]
	v_sub_f16_e32 v15, v115, v44
	v_pk_add_f16 v10, v12, v10
	v_add_f16_e32 v60, v62, v60
	v_sub_f16_e32 v64, v64, v66
	v_mul_f16_e32 v66, 0xb461, v40
	v_add_f16_e32 v65, v104, v65
	v_mul_f16_e32 v104, 0x39e9, v40
	v_mul_f16_e32 v101, 0x3722, v101
	v_add_f16_e32 v16, v41, v18
	v_add_f16_e32 v18, v83, v99
	;; [unrolled: 1-line block ×3, first 2 shown]
	v_sub_f16_e32 v15, v105, v48
	v_pk_add_f16 v7, v7, v10
	v_add_f16_e32 v60, v64, v60
	v_mul_f16_e32 v64, 0xb8d2, v53
	v_sub_f16_e32 v81, v104, v81
	v_mul_f16_e32 v104, 0x3b76, v98
	v_add_f16_e32 v16, v18, v16
	v_add_f16_e32 v14, v94, v101
	;; [unrolled: 1-line block ×3, first 2 shown]
	v_sub_f16_e32 v12, v66, v55
	v_pk_add_f16 v7, v8, v7
	v_mul_f16_e32 v62, 0xb461, v37
	v_add_f16_e32 v11, v14, v16
	v_add_f16_e32 v14, v95, v104
	;; [unrolled: 1-line block ×3, first 2 shown]
	v_sub_f16_e32 v10, v64, v80
	v_pk_add_f16 v2, v2, v7
	v_sub_f16_e32 v62, v62, v71
	v_add_f16_e32 v11, v14, v11
	v_bfi_b32 v14, 0xffff, v39, v85
	v_add_f16_e32 v9, v10, v9
	v_sub_f16_e32 v10, v63, v84
	v_pk_add_f16 v2, v3, v2
	v_mul_f16_e32 v71, 0x3b76, v53
	v_add_f16_e32 v60, v62, v60
	v_mul_f16_e32 v98, 0xbacd, v98
	v_bfi_b32 v15, 0xffff, v43, v86
	v_add_f16_e32 v9, v10, v9
	v_sub_f16_e32 v10, v50, v88
	v_and_b32_e32 v3, 0xffff, v29
	v_pk_add_f16 v14, v14, v75
	v_pk_mul_f16 v21, 0xbbdd, v21 op_sel_hi:[0,1]
	v_pk_add_f16 v0, v0, v2
	v_mul_f16_e32 v62, 0x2de8, v57
	v_add_f16_e32 v54, v97, v98
	v_add_f16_e32 v60, v81, v60
	v_sub_f16_e32 v67, v71, v76
	v_bfi_b32 v12, 0xffff, v47, v87
	v_add_f16_e32 v9, v10, v9
	v_add_lshl_u32 v2, v26, v3, 2
	v_pk_add_f16 v3, v15, v14
	v_pk_fma_f16 v10, 0xb1e1, v17, v21 op_sel:[0,0,1] op_sel_hi:[0,1,0] neg_lo:[0,1,0] neg_hi:[0,1,0]
	v_pk_mul_f16 v14, 0x35c8, v22 op_sel_hi:[0,1]
	v_pk_add_f16 v0, v1, v0
	v_pk_fma_f16 v1, 0xb1e1, v17, v21 op_sel:[0,0,1] op_sel_hi:[0,1,0]
	v_mul_f16_e32 v59, 0xbacd, v58
	v_add_f16_e32 v46, v54, v65
	v_add_f16_e32 v54, v67, v60
	v_sub_f16_e32 v45, v62, v79
	v_bfi_b32 v16, 0xffff, v51, v89
	v_pk_add_f16 v3, v12, v3
	v_pk_add_f16 v10, v10, v75
	v_pk_fma_f16 v12, 0x3b76, v20, v14 op_sel_hi:[0,1,1] neg_lo:[0,0,1] neg_hi:[0,0,1]
	v_pk_mul_f16 v15, 0xbacd, v35 op_sel_hi:[0,1]
	v_pk_add_f16 v1, v1, v75
	v_pk_fma_f16 v14, 0x3b76, v20, v14 op_sel_hi:[0,1,1]
	v_fmac_f16_e64 v133, 0x3964, v34
	v_add_f16_e32 v13, v45, v54
	v_sub_f16_e32 v18, v59, v78
	v_bfi_b32 v8, 0xffff, v68, v90
	v_pk_add_f16 v3, v16, v3
	v_pk_add_f16 v10, v12, v10
	v_pk_fma_f16 v12, 0xb836, v34, v15 op_sel:[0,0,1] op_sel_hi:[0,1,0] neg_lo:[0,1,0] neg_hi:[0,1,0]
	v_pk_mul_f16 v16, 0x39e9, v37 op_sel_hi:[0,1]
	v_pk_add_f16 v1, v14, v1
	v_pk_fma_f16 v14, 0xb836, v34, v15 op_sel:[0,0,1] op_sel_hi:[0,1,0]
	v_add_f16_e64 v116, v133, v116
	v_fmac_f16_e64 v135, 0xbb29, v36
	v_add_f16_e32 v13, v18, v13
	v_bfi_b32 v18, 0xffff, v70, v91
	v_pk_add_f16 v3, v8, v3
	v_pk_add_f16 v8, v12, v10
	v_pk_fma_f16 v10, 0x3964, v36, v16 op_sel:[0,0,1] op_sel_hi:[0,1,0] neg_lo:[0,1,0] neg_hi:[0,1,0]
	v_pk_mul_f16 v12, 0xb8d2, v40 op_sel_hi:[0,1]
	v_pk_add_f16 v1, v14, v1
	v_pk_fma_f16 v14, 0x3964, v36, v16 op_sel:[0,0,1] op_sel_hi:[0,1,0]
	v_fmac_f16_e64 v155, 0x3bf7, v38
	v_add_f16_e64 v116, v135, v116
	v_fmac_f16_e64 v137, 0xb1e1, v38
	v_bfi_b32 v7, 0xffff, v73, v92
	v_pk_add_f16 v3, v18, v3
	v_pk_add_f16 v8, v10, v8
	v_pk_fma_f16 v10, 0xba62, v38, v12 op_sel:[0,0,1] op_sel_hi:[0,1,0] neg_lo:[0,1,0] neg_hi:[0,1,0]
	v_pk_mul_f16 v15, 0x3722, v53 op_sel_hi:[0,1]
	v_pk_add_f16 v1, v14, v1
	v_pk_fma_f16 v12, 0xba62, v38, v12 op_sel:[0,0,1] op_sel_hi:[0,1,0]
	v_add_f16_e64 v111, v155, v111
	v_fmac_f16_e64 v157, 0xb964, v49
	v_add_f16_e64 v116, v137, v116
	v_fmac_f16_e64 v139, 0x3bf7, v49
	v_pk_add_f16 v3, v7, v3
	v_pk_add_f16 v7, v10, v8
	v_pk_fma_f16 v8, 0x3b29, v49, v15 op_sel:[0,0,1] op_sel_hi:[0,1,0] neg_lo:[0,1,0] neg_hi:[0,1,0]
	v_pk_mul_f16 v10, 0xb461, v57 op_sel_hi:[0,1]
	v_pk_add_f16 v1, v12, v1
	v_pk_fma_f16 v12, 0x3b29, v49, v15 op_sel:[0,0,1] op_sel_hi:[0,1,0]
	v_add_f16_e64 v111, v157, v111
	v_fmac_f16_e64 v159, 0xb1e1, v52
	v_add_f16_e64 v116, v139, v116
	v_fmac_f16_e64 v141, 0xb5c8, v52
	v_fma_f16 v179, 0x3bb2, v56, v178
	v_fmac_f16_e64 v178, 0xbbb2, v56
	v_pk_add_f16 v7, v8, v7
	v_pk_fma_f16 v8, 0xbbb2, v52, v10 op_sel:[0,0,1] op_sel_hi:[0,1,0] neg_lo:[0,1,0] neg_hi:[0,1,0]
	v_pk_mul_f16 v14, 0x2de8, v58 op_sel_hi:[0,1]
	v_pk_add_f16 v1, v12, v1
	v_pk_fma_f16 v10, 0xbbb2, v52, v10 op_sel:[0,0,1] op_sel_hi:[0,1,0]
	v_bfi_b32 v39, 0xffff, v74, v93
	v_fmac_f16_e64 v134, 0x3964, v56
	v_add_f16_e64 v111, v159, v111
	v_fmac_f16_e64 v162, 0x3b29, v56
	v_fma_f16 v131, v58, 0x3722, -v176
	v_add_f16_e64 v116, v141, v116
	v_fmac_f16_e64 v144, 0xba62, v56
	v_add_f16_e64 v123, v178, v123
	v_pk_add_f16 v7, v8, v7
	v_pk_fma_f16 v8, 0x3bf7, v56, v14 op_sel:[0,0,1] op_sel_hi:[0,1,0] neg_lo:[0,1,0] neg_hi:[0,1,0]
	v_pk_add_f16 v1, v10, v1
	v_pk_fma_f16 v10, 0x3bf7, v56, v14 op_sel:[0,0,1] op_sel_hi:[0,1,0]
	v_pk_add_f16 v3, v39, v3
	v_add_f16_e64 v117, v134, v117
	v_add_f16_e64 v111, v162, v111
	;; [unrolled: 1-line block ×4, first 2 shown]
	v_pk_add_f16 v0, v19, v0
	v_pack_b32_f16 v12, v110, v123
	v_pk_add_f16 v7, v8, v7
	v_pk_add_f16 v1, v10, v1
	v_add_f16_e64 v108, v179, v108
	v_add_f16_e64 v142, v172, v142
	v_alignbit_b32 v11, v11, v3, 16
	v_pack_b32_f16 v3, v9, v3
	v_pack_b32_f16 v9, v13, v46
	;; [unrolled: 1-line block ×5, first 2 shown]
	ds_store_2addr_b32 v2, v0, v12 offset1:7
	v_alignbit_b32 v0, v7, v1, 16
	v_alignbit_b32 v1, v1, v7, 16
	v_pack_b32_f16 v7, v107, v112
	v_pack_b32_f16 v12, v142, v108
	;; [unrolled: 1-line block ×4, first 2 shown]
	v_perm_b32 v16, v32, v6, 0x5040100
	v_perm_b32 v17, v33, v5, 0x5040100
	;; [unrolled: 1-line block ×3, first 2 shown]
	ds_store_2addr_b32 v2, v3, v11 offset0:1 offset1:2
	ds_store_2addr_b32 v2, v9, v8 offset0:3 offset1:4
	;; [unrolled: 1-line block ×7, first 2 shown]
	ds_store_b32 v2, v18 offset:64
.LBB0_7:
	s_wait_alu 0xfffe
	s_or_b32 exec_lo, exec_lo, s4
	v_mul_u32_u24_e32 v0, 6, v27
	s_load_b128 s[4:7], s[2:3], 0x0
	global_wb scope:SCOPE_SE
	s_wait_dscnt 0x0
	s_wait_kmcnt 0x0
	s_barrier_signal -1
	s_barrier_wait -1
	v_lshlrev_b32_e32 v35, 2, v0
	global_inv scope:SCOPE_SE
	v_add_lshl_u32 v34, v26, v27, 2
	v_mul_i32_i24_e32 v37, 0xffffffec, v27
	v_mul_hi_i32_i24_e32 v36, 0xffffffec, v27
	s_clause 0x1
	global_load_b128 v[0:3], v35, s[0:1]
	global_load_b64 v[7:8], v35, s[0:1] offset:16
	ds_load_2addr_b32 v[9:10], v34 offset1:17
	ds_load_2addr_b32 v[11:12], v34 offset0:34 offset1:51
	ds_load_2addr_b32 v[13:14], v34 offset0:68 offset1:85
	;; [unrolled: 1-line block ×6, first 2 shown]
	v_add_co_u32 v35, s0, s0, v35
	s_wait_alu 0xf1ff
	v_add_co_ci_u32_e64 v38, null, s1, 0, s0
	global_wb scope:SCOPE_SE
	s_wait_loadcnt_dscnt 0x0
	v_add_co_u32 v49, s0, v35, v37
	s_wait_alu 0xf1ff
	v_add_co_ci_u32_e64 v50, s0, v38, v36, s0
	s_barrier_signal -1
	s_barrier_wait -1
	global_inv scope:SCOPE_SE
	v_lshrrev_b32_e32 v35, 16, v9
	v_lshrrev_b32_e32 v36, 16, v11
	;; [unrolled: 1-line block ×20, first 2 shown]
	v_mul_f16_e32 v57, v36, v48
	v_mul_f16_e32 v58, v11, v48
	;; [unrolled: 1-line block ×24, first 2 shown]
	v_fma_f16 v11, v11, v0, -v57
	v_fmac_f16_e32 v58, v36, v0
	v_fma_f16 v13, v13, v1, -v59
	v_fmac_f16_e32 v60, v37, v1
	;; [unrolled: 2-line block ×12, first 2 shown]
	v_add_f16_e32 v36, v11, v21
	v_add_f16_e32 v37, v58, v68
	;; [unrolled: 1-line block ×4, first 2 shown]
	v_sub_f16_e32 v11, v11, v21
	v_sub_f16_e32 v21, v58, v68
	;; [unrolled: 1-line block ×4, first 2 shown]
	v_add_f16_e32 v40, v15, v17
	v_add_f16_e32 v41, v62, v64
	v_sub_f16_e32 v15, v17, v15
	v_sub_f16_e32 v17, v64, v62
	v_add_f16_e32 v51, v12, v22
	v_add_f16_e32 v52, v70, v80
	;; [unrolled: 1-line block ×4, first 2 shown]
	v_sub_f16_e32 v12, v12, v22
	v_sub_f16_e32 v22, v70, v80
	;; [unrolled: 1-line block ×4, first 2 shown]
	v_add_f16_e32 v55, v16, v18
	v_sub_f16_e32 v16, v18, v16
	v_sub_f16_e32 v18, v76, v74
	v_add_f16_e32 v57, v38, v36
	v_add_f16_e32 v58, v39, v37
	;; [unrolled: 1-line block ×3, first 2 shown]
	v_sub_f16_e32 v59, v38, v36
	v_sub_f16_e32 v60, v39, v37
	;; [unrolled: 1-line block ×6, first 2 shown]
	v_add_f16_e32 v61, v15, v13
	v_add_f16_e32 v62, v17, v19
	v_sub_f16_e32 v63, v15, v13
	v_sub_f16_e32 v64, v17, v19
	;; [unrolled: 1-line block ×4, first 2 shown]
	v_add_f16_e32 v65, v53, v51
	v_add_f16_e32 v66, v54, v52
	;; [unrolled: 1-line block ×4, first 2 shown]
	v_sub_f16_e32 v71, v16, v14
	v_sub_f16_e32 v72, v18, v20
	;; [unrolled: 1-line block ×4, first 2 shown]
	v_add_f16_e32 v40, v40, v57
	v_add_f16_e32 v41, v41, v58
	v_sub_f16_e32 v15, v11, v15
	v_sub_f16_e32 v17, v21, v17
	;; [unrolled: 1-line block ×8, first 2 shown]
	v_add_f16_e32 v11, v61, v11
	v_add_f16_e32 v21, v62, v21
	v_mul_f16_e32 v36, 0x3a52, v36
	v_mul_f16_e32 v37, 0x3a52, v37
	;; [unrolled: 1-line block ×8, first 2 shown]
	v_add_f16_e32 v55, v55, v65
	v_add_f16_e32 v56, v56, v66
	v_sub_f16_e32 v16, v12, v16
	v_sub_f16_e32 v18, v22, v18
	v_add_f16_e32 v12, v69, v12
	v_add_f16_e32 v22, v70, v22
	v_mul_f16_e32 v69, 0xb846, v71
	v_mul_f16_e32 v70, 0xb846, v72
	;; [unrolled: 1-line block ×4, first 2 shown]
	v_add_f16_e32 v9, v9, v40
	v_add_f16_e32 v35, v35, v41
	v_mul_f16_e32 v51, 0x3a52, v51
	v_mul_f16_e32 v52, 0x3a52, v52
	;; [unrolled: 1-line block ×4, first 2 shown]
	v_fmamk_f16 v38, v38, 0x2b26, v36
	v_fmamk_f16 v39, v39, 0x2b26, v37
	v_fma_f16 v57, v59, 0x39e0, -v57
	v_fma_f16 v58, v60, 0x39e0, -v58
	;; [unrolled: 1-line block ×4, first 2 shown]
	v_fmamk_f16 v59, v15, 0x3574, v61
	v_fmamk_f16 v60, v17, 0x3574, v62
	v_fma_f16 v13, v13, 0x3b00, -v61
	v_fma_f16 v19, v19, 0x3b00, -v62
	;; [unrolled: 1-line block ×4, first 2 shown]
	v_add_f16_e32 v10, v10, v55
	v_add_f16_e32 v42, v42, v56
	v_fmamk_f16 v63, v16, 0x3574, v69
	v_fmamk_f16 v64, v18, 0x3574, v70
	v_fma_f16 v14, v14, 0x3b00, -v69
	v_fma_f16 v20, v20, 0x3b00, -v70
	;; [unrolled: 1-line block ×4, first 2 shown]
	v_fmamk_f16 v40, v40, 0xbcab, v9
	v_fmamk_f16 v41, v41, 0xbcab, v35
	;; [unrolled: 1-line block ×4, first 2 shown]
	v_fma_f16 v61, v67, 0x39e0, -v65
	v_fma_f16 v62, v68, 0x39e0, -v66
	;; [unrolled: 1-line block ×4, first 2 shown]
	v_fmac_f16_e32 v59, 0x370e, v11
	v_fmac_f16_e32 v60, 0x370e, v21
	;; [unrolled: 1-line block ×6, first 2 shown]
	v_fmamk_f16 v11, v55, 0xbcab, v10
	v_fmamk_f16 v21, v56, 0xbcab, v42
	v_fmac_f16_e32 v63, 0x370e, v12
	v_fmac_f16_e32 v64, 0x370e, v22
	;; [unrolled: 1-line block ×6, first 2 shown]
	v_add_f16_e32 v12, v38, v40
	v_add_f16_e32 v22, v39, v41
	v_pack_b32_f16 v9, v9, v35
	v_add_f16_e32 v35, v57, v40
	v_add_f16_e32 v38, v58, v41
	;; [unrolled: 1-line block ×4, first 2 shown]
	v_pack_b32_f16 v10, v10, v42
	v_add_f16_e32 v39, v53, v11
	v_add_f16_e32 v40, v54, v21
	;; [unrolled: 1-line block ×7, first 2 shown]
	v_sub_f16_e32 v52, v22, v59
	v_add_f16_e32 v53, v17, v36
	v_sub_f16_e32 v54, v37, v15
	v_sub_f16_e32 v55, v35, v19
	v_add_f16_e32 v56, v13, v38
	v_add_f16_e32 v19, v19, v35
	v_sub_f16_e32 v13, v38, v13
	v_sub_f16_e32 v17, v36, v17
	v_add_f16_e32 v15, v15, v37
	v_sub_f16_e32 v12, v12, v60
	v_add_f16_e32 v22, v59, v22
	v_add_f16_e32 v35, v64, v39
	v_sub_f16_e32 v36, v40, v63
	v_add_f16_e32 v37, v18, v11
	v_sub_f16_e32 v38, v21, v16
	v_sub_f16_e32 v57, v41, v20
	v_add_f16_e32 v58, v14, v42
	v_add_f16_e32 v20, v20, v41
	v_sub_f16_e32 v14, v42, v14
	v_sub_f16_e32 v11, v11, v18
	v_add_f16_e32 v16, v16, v21
	v_sub_f16_e32 v18, v39, v64
	v_add_f16_e32 v21, v63, v40
	v_pack_b32_f16 v39, v51, v52
	v_pack_b32_f16 v40, v53, v54
	;; [unrolled: 1-line block ×12, first 2 shown]
	ds_store_2addr_b32 v34, v9, v39 offset1:17
	ds_store_2addr_b32 v34, v40, v41 offset0:34 offset1:51
	ds_store_2addr_b32 v34, v13, v15 offset0:68 offset1:85
	;; [unrolled: 1-line block ×6, first 2 shown]
	global_wb scope:SCOPE_SE
	s_wait_dscnt 0x0
	s_barrier_signal -1
	s_barrier_wait -1
	global_inv scope:SCOPE_SE
	s_clause 0x6
	global_load_b32 v36, v[49:50], off offset:408
	global_load_b32 v40, v[49:50], off offset:476
	;; [unrolled: 1-line block ×7, first 2 shown]
	ds_load_2addr_b32 v[57:58], v34 offset1:17
	ds_load_2addr_b32 v[11:12], v34 offset0:102 offset1:119
	ds_load_2addr_b32 v[9:10], v34 offset0:136 offset1:153
	;; [unrolled: 1-line block ×6, first 2 shown]
	v_lshl_add_u32 v35, v27, 2, v28
	v_add_nc_u32_e32 v56, v24, v28
	s_wait_dscnt 0x6
	v_lshrrev_b32_e32 v17, 16, v57
	s_wait_dscnt 0x5
	v_lshrrev_b32_e32 v18, 16, v12
	;; [unrolled: 2-line block ×3, first 2 shown]
	v_lshrrev_b32_e32 v21, 16, v10
	s_wait_dscnt 0x2
	v_lshrrev_b32_e32 v22, 16, v13
	v_lshrrev_b32_e32 v61, 16, v14
	s_wait_dscnt 0x0
	v_lshrrev_b32_e32 v62, 16, v15
	v_lshrrev_b32_e32 v63, 16, v16
	;; [unrolled: 1-line block ×8, first 2 shown]
	s_wait_loadcnt 0x6
	v_lshrrev_b32_e32 v55, 16, v36
	s_wait_loadcnt 0x5
	v_lshrrev_b32_e32 v54, 16, v40
	;; [unrolled: 2-line block ×7, first 2 shown]
	v_mul_f16_e32 v64, v18, v55
	v_mul_f16_e32 v66, v12, v55
	;; [unrolled: 1-line block ×14, first 2 shown]
	v_fma_f16 v12, v12, v36, -v64
	v_fmac_f16_e32 v66, v18, v36
	v_fma_f16 v9, v9, v40, -v68
	v_fmac_f16_e32 v70, v20, v40
	;; [unrolled: 2-line block ×7, first 2 shown]
	v_sub_f16_e32 v10, v57, v12
	v_sub_f16_e32 v72, v17, v66
	;; [unrolled: 1-line block ×14, first 2 shown]
	v_fma_f16 v9, v57, 2.0, -v10
	v_fma_f16 v61, v17, 2.0, -v72
	;; [unrolled: 1-line block ×6, first 2 shown]
	v_pack_b32_f16 v57, v10, v72
	v_pack_b32_f16 v58, v16, v70
	v_fma_f16 v19, v60, 2.0, -v20
	v_fma_f16 v71, v67, 2.0, -v66
	;; [unrolled: 1-line block ×8, first 2 shown]
	v_pack_b32_f16 v78, v9, v61
	v_pack_b32_f16 v79, v15, v74
	ds_store_2addr_b32 v35, v57, v58 offset0:119 offset1:136
	v_pack_b32_f16 v57, v21, v73
	v_pack_b32_f16 v59, v22, v68
	;; [unrolled: 1-line block ×10, first 2 shown]
	ds_store_2addr_b32 v35, v78, v79 offset1:17
	ds_store_b32 v35, v57 offset:136
	ds_store_b32 v56, v59 offset:612
	;; [unrolled: 1-line block ×10, first 2 shown]
	global_wb scope:SCOPE_SE
	s_wait_dscnt 0x0
	s_barrier_signal -1
	s_barrier_wait -1
	global_inv scope:SCOPE_SE
	s_and_saveexec_b32 s2, vcc_lo
	s_cbranch_execz .LBB0_9
; %bb.8:
	s_add_nc_u64 s[0:1], s[12:13], 0x3b8
	s_clause 0x10
	global_load_b32 v87, v24, s[12:13] offset:952
	global_load_b32 v88, v24, s[0:1] offset:56
	;; [unrolled: 1-line block ×17, first 2 shown]
	ds_load_2addr_b32 v[57:58], v35 offset1:14
	ds_load_2addr_b32 v[59:60], v35 offset0:28 offset1:42
	ds_load_2addr_b32 v[75:76], v35 offset0:56 offset1:70
	;; [unrolled: 1-line block ×7, first 2 shown]
	ds_load_b32 v104, v35 offset:896
	s_wait_dscnt 0x8
	v_lshrrev_b32_e32 v105, 16, v57
	v_lshrrev_b32_e32 v106, 16, v58
	s_wait_dscnt 0x7
	v_lshrrev_b32_e32 v107, 16, v59
	v_lshrrev_b32_e32 v108, 16, v60
	;; [unrolled: 3-line block ×8, first 2 shown]
	s_wait_dscnt 0x0
	v_lshrrev_b32_e32 v121, 16, v104
	s_wait_loadcnt 0x10
	v_lshrrev_b32_e32 v122, 16, v87
	s_wait_loadcnt 0xf
	;; [unrolled: 2-line block ×17, first 2 shown]
	v_lshrrev_b32_e32 v138, 16, v103
	v_mul_f16_e64 v139, v105, v122
	v_mul_f16_e32 v122, v57, v122
	v_mul_f16_e64 v140, v106, v123
	v_mul_f16_e32 v123, v58, v123
	;; [unrolled: 2-line block ×6, first 2 shown]
	v_mul_f16_e64 v145, v111, v128
	v_mul_f16_e64 v128, v77, v128
	;; [unrolled: 1-line block ×22, first 2 shown]
	v_fma_f16 v57, v57, v87, -v139
	v_fmac_f16_e32 v122, v105, v87
	v_fma_f16 v58, v58, v88, -v140
	v_fmac_f16_e32 v123, v106, v88
	;; [unrolled: 2-line block ×6, first 2 shown]
	v_fma_f16 v77, v77, v93, -v145
	v_fmac_f16_e64 v128, v111, v93
	v_fma_f16 v78, v78, v94, -v146
	v_fmac_f16_e64 v129, v112, v94
	v_fma_f16 v79, v79, v95, -v147
	v_fmac_f16_e64 v130, v113, v95
	v_fma_f16 v80, v80, v96, -v148
	v_fmac_f16_e64 v131, v114, v96
	v_fma_f16 v81, v81, v97, -v149
	v_fmac_f16_e64 v132, v115, v97
	v_fma_f16 v82, v82, v98, -v150
	v_fmac_f16_e64 v133, v116, v98
	v_fma_f16 v83, v83, v99, -v151
	v_fmac_f16_e64 v134, v117, v99
	v_fma_f16 v84, v84, v100, -v152
	v_fmac_f16_e64 v135, v118, v100
	v_fma_f16 v85, v85, v101, -v153
	v_fmac_f16_e64 v136, v119, v101
	v_fma_f16 v86, v86, v102, -v154
	v_fmac_f16_e64 v137, v120, v102
	v_fma_f16 v87, v104, v103, -v155
	v_fmac_f16_e64 v138, v121, v103
	v_pack_b32_f16 v57, v57, v122
	v_pack_b32_f16 v58, v58, v123
	;; [unrolled: 1-line block ×17, first 2 shown]
	ds_store_2addr_b32 v35, v57, v58 offset1:14
	ds_store_2addr_b32 v35, v59, v60 offset0:28 offset1:42
	ds_store_2addr_b32 v35, v75, v76 offset0:56 offset1:70
	;; [unrolled: 1-line block ×7, first 2 shown]
	ds_store_b32 v35, v87 offset:896
.LBB0_9:
	s_wait_alu 0xfffe
	s_or_b32 exec_lo, exec_lo, s2
	global_wb scope:SCOPE_SE
	s_wait_dscnt 0x0
	s_barrier_signal -1
	s_barrier_wait -1
	global_inv scope:SCOPE_SE
	s_and_saveexec_b32 s0, vcc_lo
	s_cbranch_execz .LBB0_11
; %bb.10:
	ds_load_2addr_b32 v[9:10], v35 offset1:14
	ds_load_2addr_b32 v[15:16], v35 offset0:28 offset1:42
	ds_load_2addr_b32 v[21:22], v35 offset0:56 offset1:70
	;; [unrolled: 1-line block ×7, first 2 shown]
	ds_load_b32 v30, v35 offset:896
	s_wait_dscnt 0x8
	v_lshrrev_b32_e32 v61, 16, v9
	v_lshrrev_b32_e32 v72, 16, v10
	s_wait_dscnt 0x7
	v_lshrrev_b32_e32 v74, 16, v15
	v_lshrrev_b32_e32 v70, 16, v16
	;; [unrolled: 3-line block ×8, first 2 shown]
	s_wait_dscnt 0x0
	v_lshrrev_b32_e32 v31, 16, v30
.LBB0_11:
	s_wait_alu 0xfffe
	s_or_b32 exec_lo, exec_lo, s0
	v_add_nc_u32_e32 v60, 0x88, v56
	v_add_nc_u32_e32 v59, 0xcc, v56
	;; [unrolled: 1-line block ×5, first 2 shown]
	global_wb scope:SCOPE_SE
	s_barrier_signal -1
	s_barrier_wait -1
	global_inv scope:SCOPE_SE
	s_and_saveexec_b32 s0, vcc_lo
	s_cbranch_execz .LBB0_13
; %bb.12:
	v_sub_f16_e32 v80, v10, v30
	v_add_f16_e32 v111, v31, v72
	v_sub_f16_e32 v79, v15, v6
	v_add_f16_e32 v110, v32, v74
	v_sub_f16_e32 v75, v16, v5
	v_mul_f16_e32 v120, 0xbbf7, v80
	v_add_f16_e32 v109, v33, v70
	v_mul_f16_e32 v121, 0xb1e1, v79
	v_sub_f16_e32 v76, v21, v12
	v_mul_f16_e32 v123, 0x3bb2, v75
	v_fmamk_f16 v78, v111, 0x2de8, v120
	v_add_f16_e32 v98, v62, v73
	v_fmamk_f16 v81, v110, 0xbbdd, v121
	v_sub_f16_e32 v77, v22, v11
	v_mul_f16_e32 v119, 0x35c8, v76
	v_add_f16_e32 v82, v61, v78
	v_fmamk_f16 v83, v109, 0xb461, v123
	v_add_f16_e32 v96, v65, v68
	v_sub_f16_e32 v78, v19, v14
	v_sub_f16_e32 v99, v72, v31
	v_add_f16_e32 v81, v81, v82
	v_mul_f16_e32 v124, 0xbb29, v77
	v_fmamk_f16 v84, v98, 0x3b76, v119
	v_add_f16_e32 v95, v63, v71
	v_add_f16_e32 v82, v30, v10
	;; [unrolled: 1-line block ×3, first 2 shown]
	v_sub_f16_e32 v100, v74, v32
	v_mul_f16_e32 v125, 0xb836, v78
	v_mul_f16_e64 v131, 0xbbf7, v99
	v_fmamk_f16 v85, v96, 0x3722, v124
	v_add_f16_e32 v81, v84, v81
	v_add_f16_e32 v83, v6, v15
	v_mul_f16_e64 v130, 0xb1e1, v100
	v_fmamk_f16 v84, v95, 0xbacd, v125
	v_fma_f16 v86, v82, 0x2de8, -v131
	v_add_f16_e32 v85, v85, v81
	v_sub_f16_e32 v101, v70, v33
	v_sub_f16_e32 v81, v20, v13
	v_fma_f16 v87, v83, 0xbbdd, -v130
	v_add_f16_e32 v86, v9, v86
	v_add_f16_e32 v88, v84, v85
	;; [unrolled: 1-line block ×3, first 2 shown]
	v_mul_f16_e64 v132, 0x3bb2, v101
	v_sub_f16_e32 v103, v73, v62
	v_mul_f16_e32 v122, 0x3a62, v81
	v_add_f16_e32 v102, v67, v66
	v_add_f16_e32 v87, v87, v86
	v_fma_f16 v89, v85, 0xb461, -v132
	v_add_f16_e32 v86, v12, v21
	v_mul_f16_e32 v127, 0x35c8, v103
	v_sub_f16_e32 v105, v68, v65
	v_mul_f16_e64 v136, 0xbbb2, v80
	v_fmamk_f16 v90, v102, 0xb8d2, v122
	v_add_f16_e32 v89, v89, v87
	v_fma_f16 v91, v86, 0x3b76, -v127
	v_add_f16_e32 v87, v11, v22
	v_mul_f16_e64 v128, 0xbb29, v105
	v_sub_f16_e32 v106, v71, v63
	v_fma_f16 v92, 0xb461, v111, v136
	v_mul_f16_e64 v144, 0x3836, v79
	v_add_f16_e32 v88, v90, v88
	v_add_f16_e32 v90, v91, v89
	v_fma_f16 v91, v87, 0x3722, -v128
	v_add_f16_e32 v89, v14, v19
	v_mul_f16_e64 v134, 0xb836, v106
	v_sub_f16_e32 v108, v66, v67
	v_add_f16_e32 v92, v61, v92
	v_fma_f16 v94, 0xbacd, v110, v144
	v_mul_f16_e64 v145, 0x3964, v75
	v_sub_f16_e32 v84, v17, v18
	v_add_f16_e32 v91, v91, v90
	v_fma_f16 v93, v89, 0xbacd, -v134
	v_add_f16_e32 v90, v13, v20
	v_mul_f16_e64 v135, 0x3a62, v108
	v_add_f16_e32 v92, v94, v92
	v_fma_f16 v94, 0x39e9, v109, v145
	v_mul_f16_e64 v137, 0xbb29, v76
	v_mul_f16_e32 v126, 0x3964, v84
	v_add_f16_e32 v104, v64, v69
	v_add_f16_e32 v91, v93, v91
	v_fma_f16 v93, v90, 0xb8d2, -v135
	v_sub_f16_e32 v112, v69, v64
	v_add_f16_e32 v92, v94, v92
	v_fma_f16 v94, 0x3722, v98, v137
	v_mul_f16_e64 v141, 0xb1e1, v77
	v_mul_f16_e64 v146, 0xbbb2, v99
	v_fmamk_f16 v97, v104, 0x39e9, v126
	v_add_f16_e32 v93, v93, v91
	v_add_f16_e32 v91, v18, v17
	v_mul_f16_e64 v129, 0x3964, v112
	v_add_f16_e32 v92, v94, v92
	v_fma_f16 v94, 0xbbdd, v96, v141
	v_mul_f16_e64 v147, 0x3bf7, v78
	v_fma_f16 v107, v82, 0xb461, -v146
	v_mul_f16_e64 v148, 0x3836, v100
	v_add_f16_e32 v88, v97, v88
	v_fma_f16 v97, v91, 0x39e9, -v129
	v_add_f16_e32 v92, v94, v92
	v_fma_f16 v94, 0x2de8, v95, v147
	v_add_f16_e32 v107, v9, v107
	v_fma_f16 v113, v83, 0xbacd, -v148
	v_mul_f16_e64 v143, 0x3964, v101
	v_mul_f16_e64 v140, 0xb5c8, v81
	v_add_f16_e32 v94, v94, v92
	v_add_f16_e32 v92, v97, v93
	;; [unrolled: 1-line block ×3, first 2 shown]
	v_fma_f16 v97, v85, 0x39e9, -v143
	v_mul_f16_e64 v149, 0xbb29, v103
	v_mul_f16_e32 v118, 0xba62, v80
	v_fma_f16 v114, 0x3b76, v102, v140
	v_mul_f16_e64 v150, 0xb1e1, v105
	v_add_f16_e32 v93, v97, v93
	v_fma_f16 v97, v86, 0x3722, -v149
	v_fmamk_f16 v113, v111, 0xb8d2, v118
	v_mul_f16_e64 v133, 0x3bb2, v79
	v_add_f16_e32 v94, v114, v94
	v_mul_f16_e64 v138, 0xba62, v84
	v_add_f16_e32 v93, v97, v93
	v_fma_f16 v97, v87, 0xbbdd, -v150
	v_mul_f16_e64 v151, 0x3bf7, v106
	v_add_f16_e32 v113, v61, v113
	v_fma_f16 v114, 0xb461, v110, v133
	v_mul_f16_e64 v152, 0xb5c8, v75
	v_fma_f16 v107, 0xb8d2, v104, v138
	v_add_f16_e32 v93, v97, v93
	v_fma_f16 v97, v89, 0x2de8, -v151
	v_add_f16_e32 v113, v114, v113
	v_fma_f16 v114, 0x3b76, v109, v152
	v_mul_f16_e64 v153, 0xb836, v76
	v_mul_f16_e64 v154, 0x3bf7, v77
	v_add_f16_e32 v97, v97, v93
	v_add_f16_e32 v93, v107, v94
	;; [unrolled: 1-line block ×3, first 2 shown]
	v_fma_f16 v107, 0xbacd, v98, v153
	v_mul_f16_e64 v142, 0xb5c8, v108
	v_mul_f16_e64 v155, 0xba62, v99
	;; [unrolled: 1-line block ×4, first 2 shown]
	v_add_f16_e32 v94, v107, v94
	v_fma_f16 v107, 0x2de8, v96, v154
	v_fma_f16 v115, v90, 0x3b76, -v142
	v_fma_f16 v114, v82, 0xb8d2, -v155
	v_mul_f16_e64 v157, 0x3bb2, v100
	v_mul_f16_e64 v158, 0xb1e1, v81
	v_add_f16_e32 v94, v107, v94
	v_fma_f16 v107, 0x39e9, v95, v156
	v_add_f16_e32 v97, v115, v97
	v_fma_f16 v113, v91, 0xb8d2, -v139
	v_add_f16_e32 v114, v9, v114
	v_fma_f16 v115, v83, 0xb461, -v157
	v_mul_f16_e64 v159, 0xb5c8, v101
	v_add_f16_e32 v107, v107, v94
	v_fma_f16 v116, 0xbbdd, v102, v158
	v_add_f16_e32 v94, v113, v97
	v_add_f16_e32 v97, v115, v114
	v_fma_f16 v113, v85, 0x3b76, -v159
	v_mul_f16_e64 v160, 0xb836, v103
	v_add_f16_e32 v107, v116, v107
	v_mul_f16_e32 v116, 0xb836, v80
	v_mul_f16_e64 v162, 0x3bf7, v105
	v_add_f16_e32 v97, v113, v97
	v_fma_f16 v113, v86, 0xbacd, -v160
	v_mul_f16_e32 v117, 0x3b29, v79
	v_fmamk_f16 v115, v111, 0xbacd, v116
	v_mul_f16_e64 v161, 0x3b29, v84
	v_mul_f16_e64 v163, 0xb964, v106
	v_add_f16_e32 v97, v113, v97
	v_fma_f16 v113, v87, 0x2de8, -v162
	v_add_f16_e32 v115, v61, v115
	v_fma_f16 v164, 0x3722, v110, v117
	v_mul_f16_e64 v165, 0xbbf7, v75
	v_fma_f16 v114, 0x3722, v104, v161
	v_add_f16_e32 v97, v113, v97
	v_fma_f16 v113, v89, 0x39e9, -v163
	v_mul_f16_e64 v166, 0xb1e1, v108
	v_add_f16_e64 v115, v164, v115
	v_fma_f16 v164, 0x2de8, v109, v165
	v_mul_f16_e64 v167, 0x3a62, v76
	v_add_f16_e32 v113, v113, v97
	v_fma_f16 v168, v90, 0xbbdd, -v166
	v_add_f16_e32 v97, v114, v107
	v_add_f16_e64 v107, v164, v115
	v_fma_f16 v114, 0xb8d2, v98, v167
	v_mul_f16_e64 v164, 0xb5c8, v77
	v_mul_f16_e64 v169, 0xb836, v99
	v_add_f16_e64 v113, v168, v113
	v_mul_f16_e64 v168, 0x3b29, v112
	v_add_f16_e32 v107, v114, v107
	v_fma_f16 v114, 0x3b76, v96, v164
	v_mul_f16_e64 v170, 0xb1e1, v78
	v_fma_f16 v171, v82, 0xbacd, -v169
	v_mul_f16_e64 v172, 0x3b29, v100
	v_fma_f16 v115, v91, 0x3722, -v168
	v_add_f16_e32 v107, v114, v107
	v_fma_f16 v114, 0xbbdd, v95, v170
	v_mul_f16_e64 v173, 0x3964, v81
	v_add_f16_e64 v171, v9, v171
	v_fma_f16 v174, v83, 0x3722, -v172
	v_mul_f16_e64 v175, 0xbbf7, v101
	v_add_f16_e32 v114, v114, v107
	v_fma_f16 v176, 0x39e9, v102, v173
	v_add_f16_e32 v107, v115, v113
	v_add_f16_e64 v113, v174, v171
	v_fma_f16 v115, v85, 0x2de8, -v175
	v_mul_f16_e64 v171, 0x3a62, v103
	v_add_f16_e64 v114, v176, v114
	v_mul_f16_e64 v176, 0xb1e1, v80
	v_mul_f16_e64 v177, 0xb5c8, v105
	v_add_f16_e32 v113, v115, v113
	v_fma_f16 v115, v86, 0xb8d2, -v171
	v_mul_f16_e64 v180, 0x35c8, v79
	v_fma_f16 v179, 0xbbdd, v111, v176
	v_mul_f16_e64 v181, 0xb1e1, v106
	v_mul_f16_e64 v174, 0xbbb2, v84
	v_add_f16_e32 v113, v115, v113
	v_fma_f16 v115, v87, 0x3b76, -v177
	v_add_f16_e64 v179, v61, v179
	v_fma_f16 v182, 0x3b76, v110, v180
	v_mul_f16_e64 v183, 0xb836, v75
	v_mul_f16_e64 v184, 0x3964, v108
	v_add_f16_e32 v113, v115, v113
	v_fma_f16 v115, v89, 0xbbdd, -v181
	v_fma_f16 v178, 0xb461, v104, v174
	v_add_f16_e64 v179, v182, v179
	v_fma_f16 v182, 0xbacd, v109, v183
	v_mul_f16_e64 v185, 0x3964, v76
	v_add_f16_e32 v115, v115, v113
	v_fma_f16 v186, v90, 0x39e9, -v184
	v_add_f16_e64 v113, v178, v114
	v_add_f16_e64 v114, v182, v179
	v_fma_f16 v178, 0x39e9, v98, v185
	v_mul_f16_e64 v179, 0xba62, v77
	v_add_f16_e64 v115, v186, v115
	v_mul_f16_e64 v186, 0xb1e1, v99
	v_mul_f16_e64 v182, 0xbbb2, v112
	v_add_f16_e64 v114, v178, v114
	v_fma_f16 v178, 0xb8d2, v96, v179
	v_mul_f16_e64 v187, 0x3b29, v78
	v_fma_f16 v189, v82, 0xbbdd, -v186
	v_mul_f16_e64 v190, 0x35c8, v100
	v_fma_f16 v188, v91, 0xb461, -v182
	v_add_f16_e64 v114, v178, v114
	v_fma_f16 v178, 0x3722, v95, v187
	v_mul_f16_e64 v191, 0xbbb2, v81
	v_add_f16_e64 v189, v9, v189
	v_fma_f16 v192, v83, 0x3b76, -v190
	v_mul_f16_e64 v193, 0xb836, v101
	v_add_f16_e64 v178, v178, v114
	v_fma_f16 v194, 0xb461, v102, v191
	v_add_f16_e64 v114, v188, v115
	v_add_f16_e64 v115, v192, v189
	v_fma_f16 v188, v85, 0xbacd, -v193
	v_mul_f16_e64 v189, 0x3964, v103
	v_mul_f16_e64 v192, 0x3bf7, v84
	v_fma_f16 v176, v111, 0xbbdd, -v176
	v_add_f16_e64 v178, v194, v178
	v_add_f16_e64 v115, v188, v115
	v_fma_f16 v188, v86, 0x39e9, -v189
	v_fma_f16 v195, 0x2de8, v104, v192
	v_add_f16_e64 v176, v61, v176
	v_fma_f16 v180, v110, 0x3b76, -v180
	v_fmac_f16_e64 v186, 0xbbdd, v82
	v_add_f16_e64 v188, v188, v115
	v_add_f16_e64 v115, v195, v178
	v_fma_f16 v178, v109, 0xbacd, -v183
	v_add_f16_e64 v176, v180, v176
	v_fma_f16 v116, v111, 0xbacd, -v116
	v_fma_f16 v117, v110, 0x3722, -v117
	;; [unrolled: 1-line block ×4, first 2 shown]
	v_add_f16_e64 v176, v178, v176
	v_fma_f16 v178, v98, 0x39e9, -v185
	v_add_f16_e64 v185, v9, v186
	v_add_f16_e64 v186, v61, v116
	v_fma_f16 v118, v111, 0xb8d2, -v118
	v_fma_f16 v133, v110, 0xb461, -v133
	v_fma_f16 v152, v109, 0x3b76, -v152
	v_fma_f16 v154, v96, 0x2de8, -v154
	v_add_f16_e64 v117, v117, v186
	v_fma_f16 v136, v111, 0xb461, -v136
	v_fma_f16 v144, v110, 0xbacd, -v144
	v_fma_f16 v145, v109, 0x39e9, -v145
	v_fma_f16 v137, v98, 0x3722, -v137
	;; [unrolled: 5-line block ×3, first 2 shown]
	v_fma_f16 v123, v109, 0xb461, -v123
	v_add_f16_e64 v165, v165, v117
	v_fma_f16 v140, v102, 0x3b76, -v140
	v_fmac_f16_e64 v131, 0x2de8, v82
	v_fma_f16 v119, v98, 0x3b76, -v119
	v_fmac_f16_e64 v169, 0xbacd, v82
	v_add_f16_e64 v164, v164, v165
	v_fma_f16 v165, v95, 0xbbdd, -v170
	v_add_f16_e64 v170, v61, v118
	v_fmac_f16_e64 v146, 0xb461, v82
	v_add_f16_e64 v131, v9, v131
	v_fmac_f16_e64 v130, 0xbbdd, v83
	v_fma_f16 v124, v96, 0x3722, -v124
	v_add_f16_e64 v133, v133, v170
	v_add_f16_e64 v169, v9, v169
	v_fmac_f16_e64 v172, 0x3722, v83
	v_add_f16_e64 v146, v9, v146
	v_fmac_f16_e64 v148, 0xbacd, v83
	v_add_f16_e64 v133, v152, v133
	v_fma_f16 v152, v98, 0xbacd, -v153
	v_add_f16_e64 v130, v130, v131
	v_fmac_f16_e64 v132, 0xb461, v85
	v_add_f16_e64 v169, v172, v169
	v_fmac_f16_e64 v175, 0x2de8, v85
	v_add_f16_e64 v152, v152, v133
	v_add_f16_e64 v146, v148, v146
	v_fmac_f16_e64 v143, 0x39e9, v85
	v_fmac_f16_e32 v127, 0x3b76, v86
	v_add_f16_e64 v169, v175, v169
	v_add_f16_e64 v152, v154, v152
	v_fma_f16 v154, v95, 0x39e9, -v156
	v_add_f16_e64 v156, v61, v136
	v_fmac_f16_e64 v171, 0xb8d2, v86
	v_fmac_f16_e64 v155, 0xb8d2, v82
	v_add_f16_e64 v143, v143, v146
	v_fmac_f16_e64 v149, 0x3722, v86
	v_add_f16_e64 v144, v144, v156
	v_fma_f16 v122, v102, 0xb8d2, -v122
	v_fmac_f16_e64 v128, 0x3722, v87
	v_add_f16_e64 v164, v165, v164
	v_fma_f16 v165, v102, 0x39e9, -v173
	v_add_f16_e64 v144, v145, v144
	v_add_f16_e64 v169, v171, v169
	v_fmac_f16_e64 v177, 0x3b76, v87
	v_add_f16_e64 v155, v9, v155
	v_fmac_f16_e64 v157, 0xb461, v83
	v_add_f16_e64 v144, v137, v144
	v_add_f16_e64 v143, v149, v143
	v_fmac_f16_e64 v150, 0xbbdd, v87
	v_add_f16_e64 v164, v165, v164
	v_add_f16_e64 v165, v177, v169
	v_add_f16_e64 v141, v141, v144
	v_fma_f16 v144, v95, 0x2de8, -v147
	v_fmac_f16_e64 v181, 0xbbdd, v89
	v_add_f16_e64 v155, v157, v155
	v_fmac_f16_e64 v159, 0x3b76, v85
	v_fmac_f16_e64 v151, 0x2de8, v89
	v_add_f16_e64 v141, v144, v141
	v_add_f16_e64 v144, v61, v120
	v_mul_f16_e64 v131, 0xb461, v98
	v_add_f16_e64 v153, v181, v165
	v_fmac_f16_e64 v184, 0x39e9, v90
	v_add_f16_e64 v140, v140, v141
	v_add_f16_e64 v121, v121, v144
	;; [unrolled: 1-line block ×4, first 2 shown]
	v_fmac_f16_e64 v160, 0xbacd, v86
	v_fmac_f16_e64 v142, 0x3b76, v90
	v_add_f16_e32 v121, v123, v121
	v_fma_f16 v123, v104, 0xb8d2, -v138
	v_add_f16_e64 v138, v151, v141
	v_add_f16_e64 v153, v184, v153
	v_fmac_f16_e64 v182, 0xb461, v91
	v_add_f16_e32 v121, v119, v121
	v_add_f16_e64 v119, v123, v140
	v_fma_f16 v123, v95, 0xbacd, -v125
	v_add_f16_e64 v125, v132, v130
	v_mul_f16_e64 v130, 0xb8d2, v110
	v_add_f16_e32 v121, v124, v121
	v_mul_f16_e64 v132, 0x39e9, v96
	v_add_f16_e64 v155, v160, v155
	v_add_f16_e32 v125, v127, v125
	v_fmac_f16_e64 v162, 0x2de8, v87
	v_add_f16_e32 v121, v123, v121
	v_mul_f16_e32 v123, 0x3722, v111
	v_add_f16_e64 v124, v142, v138
	v_mul_f16_e64 v138, 0x3b76, v95
	v_add_f16_e64 v136, v182, v153
	v_add_f16_e32 v121, v122, v121
	v_fmamk_f16 v127, v80, 0x3b29, v123
	v_add_f16_e64 v122, v128, v125
	v_mul_f16_e64 v128, 0xbbdd, v109
	v_add_f16_e64 v153, v162, v155
	v_fmac_f16_e64 v163, 0x39e9, v89
	v_add_f16_e32 v125, v61, v127
	v_fma_f16 v127, 0x3a62, v79, v130
	v_mul_f16_e64 v141, 0x2de8, v102
	v_fmac_f16_e64 v166, 0xbbdd, v90
	v_add_f16_e64 v145, v163, v153
	v_mul_f16_e64 v143, 0x39e9, v111
	v_add_f16_e32 v125, v127, v125
	v_fma_f16 v127, 0xb1e1, v75, v128
	v_fmac_f16_e64 v168, 0x3722, v91
	v_add_f16_e64 v145, v166, v145
	v_fma_f16 v146, 0x3964, v80, v143
	v_mul_f16_e64 v147, 0x2de8, v110
	v_add_f16_e32 v125, v127, v125
	v_fma_f16 v127, 0xbbb2, v76, v131
	v_add_f16_e64 v152, v154, v152
	v_fma_f16 v154, v102, 0xbbdd, -v158
	v_add_f16_e64 v120, v168, v145
	v_add_f16_e64 v146, v61, v146
	v_add_f16_e32 v125, v127, v125
	v_fma_f16 v127, 0xb964, v77, v132
	v_fma_f16 v149, 0x3bf7, v79, v147
	v_mul_f16_e64 v150, 0xb8d2, v109
	v_add_f16_e64 v152, v154, v152
	v_fma_f16 v154, v104, 0x3722, -v161
	v_add_f16_e32 v125, v127, v125
	v_fma_f16 v127, 0x35c8, v78, v138
	v_mul_f16_e64 v156, 0xb461, v95
	v_mul_f16_e64 v159, 0x3722, v102
	v_add_f16_e64 v137, v154, v152
	v_mul_f16_e64 v152, 0xbacd, v96
	v_add_f16_e32 v125, v127, v125
	v_fma_f16 v127, 0x3bf7, v81, v141
	v_mul_f16_e32 v111, 0x3b76, v111
	v_add_f16_e32 v10, v10, v9
	v_mul_f16_e32 v110, 0x39e9, v110
	v_mul_f16_e32 v109, 0x3722, v109
	v_add_f16_e32 v125, v127, v125
	v_mul_f16_e32 v127, 0xbacd, v104
	v_fma_f16 v163, 0x35c8, v80, v111
	v_add_f16_e32 v10, v15, v10
	v_add_f16_e32 v15, v72, v61
	v_fma_f16 v165, 0x3964, v79, v110
	v_fma_f16 v145, 0x3836, v84, v127
	v_add_f16_e64 v163, v61, v163
	v_add_f16_e32 v10, v16, v10
	v_add_f16_e32 v15, v74, v15
	v_add_f16_e64 v176, v178, v176
	v_add_f16_e64 v125, v145, v125
	;; [unrolled: 1-line block ×3, first 2 shown]
	v_fma_f16 v146, 0x3a62, v75, v150
	v_mul_f16_e64 v149, 0xbbdd, v98
	v_mul_f16_e32 v98, 0x2de8, v98
	v_add_f16_e32 v10, v21, v10
	v_add_f16_e32 v15, v70, v15
	v_add_f16_e64 v145, v146, v145
	v_fma_f16 v146, 0x31e1, v76, v149
	v_fma_f16 v178, v96, 0xb8d2, -v179
	v_fmamk_f16 v72, v76, 0x3bf7, v98
	v_mul_f16_e32 v96, 0xb461, v96
	v_add_f16_e32 v10, v22, v10
	v_add_f16_e64 v145, v146, v145
	v_fma_f16 v146, 0xb836, v77, v152
	v_add_f16_e32 v15, v73, v15
	v_mul_f16_e32 v21, 0xb5c8, v99
	v_add_f16_e32 v10, v19, v10
	v_mul_f16_e32 v70, 0xb8d2, v95
	v_add_f16_e64 v145, v146, v145
	v_fma_f16 v146, 0xbbb2, v78, v156
	v_add_f16_e32 v15, v68, v15
	v_fmamk_f16 v22, v82, 0x3b76, v21
	v_add_f16_e32 v10, v20, v10
	v_mul_f16_e32 v68, 0xbb29, v101
	v_add_f16_e64 v145, v146, v145
	v_fma_f16 v146, 0xbb29, v81, v159
	v_add_f16_e32 v15, v71, v15
	v_add_f16_e32 v19, v9, v22
	;; [unrolled: 1-line block ×3, first 2 shown]
	v_fmamk_f16 v20, v85, 0x3722, v68
	v_add_f16_e64 v145, v146, v145
	v_mul_f16_e64 v146, 0x3b76, v104
	v_add_f16_e32 v15, v66, v15
	v_mul_f16_e32 v17, 0xbbf7, v103
	v_add_f16_e32 v10, v18, v10
	v_fmamk_f16 v73, v78, 0x3a62, v70
	v_fma_f16 v162, 0xb5c8, v84, v146
	v_add_f16_e32 v15, v69, v15
	v_fmamk_f16 v18, v86, 0x2de8, v17
	v_add_f16_e32 v10, v13, v10
	v_fmac_f16_e64 v134, 0xbacd, v89
	v_add_f16_e64 v145, v162, v145
	v_add_f16_e64 v162, v165, v163
	v_fma_f16 v163, 0x3b29, v75, v109
	v_add_f16_e32 v13, v64, v15
	v_add_f16_e32 v10, v14, v10
	v_fma_f16 v126, v104, 0x39e9, -v126
	v_add_f16_e64 v122, v134, v122
	v_add_f16_e64 v162, v163, v162
	v_add_f16_e32 v13, v67, v13
	v_add_f16_e32 v10, v11, v10
	v_fmac_f16_e64 v135, 0xb8d2, v90
	v_add_f16_e32 v121, v126, v121
	v_add_f16_e64 v16, v72, v162
	v_fmamk_f16 v72, v77, 0x3bb2, v96
	v_add_f16_e32 v11, v63, v13
	v_mul_f16_e32 v13, 0xb836, v108
	v_mul_f16_e32 v126, 0xbb29, v99
	v_add_f16_e32 v10, v12, v10
	v_add_f16_e32 v16, v72, v16
	v_mul_f16_e32 v72, 0xb964, v100
	v_add_f16_e32 v11, v65, v11
	v_fmamk_f16 v12, v90, 0xbacd, v13
	v_mul_f16_e64 v194, 0xba62, v105
	v_add_f16_e32 v16, v73, v16
	v_fmamk_f16 v22, v83, 0x39e9, v72
	v_fmac_f16_e64 v139, 0xb8d2, v91
	v_add_f16_e64 v122, v135, v122
	v_fma_f16 v134, 0x3722, v82, v126
	v_mul_f16_e64 v135, 0xba62, v100
	v_add_f16_e32 v19, v22, v19
	v_mul_f16_e32 v22, 0xbacd, v102
	v_add_f16_e32 v5, v5, v10
	v_add_f16_e32 v10, v62, v11
	v_fma_f16 v196, v87, 0xb8d2, -v194
	v_add_f16_e32 v19, v20, v19
	v_mul_f16_e32 v20, 0xbbb2, v105
	v_fmamk_f16 v66, v81, 0x3836, v22
	v_mul_f16_e64 v197, 0x3b29, v106
	v_add_f16_e64 v124, v139, v124
	v_add_f16_e32 v15, v18, v19
	v_fmamk_f16 v18, v87, 0xb461, v20
	v_mul_f16_e32 v19, 0xba62, v106
	v_add_f16_e32 v14, v66, v16
	v_add_f16_e64 v134, v9, v134
	v_fma_f16 v139, 0xb8d2, v83, v135
	v_add_f16_e32 v15, v18, v15
	v_fmamk_f16 v16, v89, 0xb8d2, v19
	v_mul_f16_e64 v140, 0x31e1, v101
	v_add_f16_e32 v5, v6, v5
	v_add_f16_e32 v6, v33, v10
	v_add_f16_e64 v180, v196, v188
	v_add_f16_e32 v15, v16, v15
	v_mul_f16_e32 v16, 0xb1e1, v112
	v_fma_f16 v183, v89, 0x3722, -v197
	v_mul_f16_e64 v188, 0xbbb2, v108
	v_fmac_f16_e64 v129, 0x39e9, v91
	v_add_f16_e32 v11, v12, v15
	v_fmamk_f16 v12, v91, 0xbbdd, v16
	v_add_f16_e64 v134, v139, v134
	v_fma_f16 v139, 0xbbdd, v85, v140
	v_mul_f16_e64 v142, 0x3bb2, v103
	v_fma_f16 v15, v83, 0xb8d2, -v135
	v_add_f16_e32 v10, v12, v11
	v_fma_f16 v11, v82, 0x3722, -v126
	v_fmac_f16_e64 v143, 0xb964, v80
	v_add_f16_e64 v180, v183, v180
	v_fma_f16 v183, v90, 0xb461, -v188
	v_fmac_f16_e64 v190, 0x3b76, v83
	v_add_f16_e32 v11, v9, v11
	v_add_f16_e64 v122, v129, v122
	v_add_f16_e64 v129, v139, v134
	v_fma_f16 v134, 0xb461, v86, v142
	v_mul_f16_e64 v139, 0x3964, v105
	v_add_f16_e32 v5, v30, v5
	v_add_f16_e32 v11, v15, v11
	v_fma_f16 v15, v85, 0xbbdd, -v140
	v_add_f16_e64 v30, v61, v143
	v_fmac_f16_e64 v147, 0xbbf7, v79
	v_add_f16_e64 v179, v183, v180
	v_add_f16_e64 v183, v190, v185
	v_fmac_f16_e64 v193, 0xbacd, v85
	v_add_f16_e64 v129, v134, v129
	v_fma_f16 v134, 0x39e9, v87, v139
	v_mul_f16_e64 v144, 0xb5c8, v106
	v_add_f16_e32 v11, v15, v11
	v_fma_f16 v15, v86, 0xb461, -v142
	v_add_f16_e64 v30, v147, v30
	v_fmac_f16_e64 v150, 0xba62, v75
	v_add_f16_e64 v176, v178, v176
	v_fma_f16 v178, v95, 0x3722, -v187
	v_add_f16_e64 v183, v193, v183
	v_fmac_f16_e64 v189, 0x39e9, v86
	v_add_f16_e64 v129, v134, v129
	v_fma_f16 v134, 0x3b76, v89, v144
	v_mul_f16_e64 v148, 0xbbf7, v108
	v_mul_f16_e64 v151, 0xb964, v99
	v_add_f16_e32 v11, v15, v11
	v_fma_f16 v15, v87, 0x39e9, -v139
	v_add_f16_e64 v30, v150, v30
	v_fmac_f16_e64 v149, 0xb1e1, v76
	v_add_f16_e64 v176, v178, v176
	v_fma_f16 v178, v102, 0xb461, -v191
	v_add_f16_e64 v183, v189, v183
	v_fmac_f16_e64 v194, 0xb8d2, v87
	v_add_f16_e64 v129, v134, v129
	v_fma_f16 v134, 0x2de8, v90, v148
	v_fma_f16 v154, 0x39e9, v82, v151
	v_mul_f16_e64 v155, 0xbbf7, v100
	v_add_f16_e32 v11, v15, v11
	v_fma_f16 v15, v89, 0x3b76, -v144
	v_add_f16_e64 v30, v149, v30
	v_fmac_f16_e64 v152, 0x3836, v77
	v_add_f16_e64 v176, v178, v176
	v_add_f16_e64 v178, v194, v183
	v_fmac_f16_e64 v197, 0x3722, v89
	v_add_f16_e64 v129, v134, v129
	v_mul_f16_e64 v134, 0xb836, v112
	v_add_f16_e64 v154, v9, v154
	v_fma_f16 v157, 0x2de8, v83, v155
	v_mul_f16_e64 v158, 0xba62, v101
	v_add_f16_e32 v6, v32, v6
	v_add_f16_e32 v11, v15, v11
	v_fma_f16 v15, v90, 0x2de8, -v148
	v_add_f16_e64 v30, v152, v30
	v_fmac_f16_e64 v156, 0x3bb2, v78
	v_mul_f16_e64 v180, 0x3bf7, v112
	v_add_f16_e64 v167, v197, v178
	v_fmac_f16_e64 v188, 0xb461, v90
	v_fma_f16 v153, 0xbacd, v91, v134
	v_add_f16_e64 v154, v157, v154
	v_fma_f16 v157, 0xb8d2, v85, v158
	v_mul_f16_e64 v160, 0xb1e1, v103
	v_add_f16_e32 v6, v31, v6
	v_add_f16_e32 v11, v15, v11
	v_fma_f16 v15, v91, 0xbacd, -v134
	v_add_f16_e64 v30, v156, v30
	v_fmac_f16_e64 v159, 0x3b29, v81
	v_fma_f16 v31, v82, 0x39e9, -v151
	v_fmac_f16_e32 v123, 0xbb29, v80
	v_fmac_f16_e32 v111, 0xb5c8, v80
	v_fma_f16 v21, v82, 0x3b76, -v21
	v_fma_f16 v185, v91, 0x2de8, -v180
	v_add_f16_e64 v167, v188, v167
	v_fmac_f16_e64 v180, 0x2de8, v91
	v_add_f16_e64 v129, v153, v129
	v_add_f16_e64 v153, v157, v154
	v_fma_f16 v154, 0xbbdd, v86, v160
	v_mul_f16_e64 v157, 0x3836, v105
	v_add_f16_e32 v11, v15, v11
	v_add_f16_e64 v15, v159, v30
	v_add_f16_e32 v30, v9, v31
	v_fma_f16 v31, v83, 0x2de8, -v155
	v_add_f16_e32 v12, v61, v123
	v_fmac_f16_e64 v130, 0xba62, v79
	v_add_f16_e32 v32, v61, v111
	v_fmac_f16_e32 v110, 0xb964, v79
	v_add_f16_e32 v9, v9, v21
	v_fma_f16 v21, v83, 0x39e9, -v72
	v_add_f16_e64 v118, v180, v167
	v_fma_f16 v167, v104, 0xb461, -v174
	v_add_f16_e64 v153, v154, v153
	v_fma_f16 v154, 0xbacd, v87, v157
	v_mul_f16_e64 v161, 0x3bb2, v106
	v_add_f16_e32 v30, v31, v30
	v_fma_f16 v31, v85, 0xb8d2, -v158
	v_add_f16_e64 v12, v130, v12
	v_fmac_f16_e64 v128, 0x31e1, v75
	v_add_f16_e32 v32, v110, v32
	v_fmac_f16_e32 v109, 0xbb29, v75
	v_add_f16_e32 v9, v21, v9
	v_fma_f16 v21, v85, 0x3722, -v68
	v_add_f16_e64 v133, v167, v164
	v_add_f16_e64 v153, v154, v153
	v_fma_f16 v154, 0xb461, v89, v161
	v_mul_f16_e64 v164, 0x3b29, v108
	v_add_f16_e32 v30, v31, v30
	v_fma_f16 v31, v86, 0xbbdd, -v160
	v_add_f16_e64 v12, v128, v12
	v_fmac_f16_e64 v131, 0x3bb2, v76
	v_add_f16_e32 v32, v109, v32
	v_fmac_f16_e32 v98, 0xbbf7, v76
	v_add_f16_e32 v9, v21, v9
	v_fma_f16 v17, v86, 0x2de8, -v17
	v_add_f16_e64 v153, v154, v153
	v_fma_f16 v154, 0x3722, v90, v164
	v_add_f16_e32 v30, v31, v30
	v_fma_f16 v31, v87, 0xbacd, -v157
	v_add_f16_e64 v12, v131, v12
	v_fmac_f16_e64 v132, 0x3964, v77
	v_add_f16_e32 v32, v98, v32
	v_fmac_f16_e32 v96, 0xbbb2, v77
	v_add_f16_e32 v9, v17, v9
	v_fma_f16 v17, v87, 0xb461, -v20
	v_mul_f16_e32 v18, 0xbbdd, v104
	v_add_f16_e64 v153, v154, v153
	v_mul_f16_e64 v154, 0x35c8, v112
	v_add_f16_e32 v21, v31, v30
	v_fma_f16 v30, v89, 0xb461, -v161
	v_add_f16_e64 v12, v132, v12
	v_fmac_f16_e64 v138, 0xb5c8, v78
	v_add_f16_e32 v31, v96, v32
	v_fmac_f16_e32 v70, 0xba62, v78
	v_add_f16_e32 v9, v17, v9
	v_fma_f16 v17, v89, 0xb8d2, -v19
	v_fmamk_f16 v63, v84, 0x31e1, v18
	v_fma_f16 v163, 0x3b76, v91, v154
	v_add_f16_e32 v20, v30, v21
	v_fma_f16 v21, v90, 0x3722, -v164
	v_add_f16_e64 v12, v138, v12
	v_fmac_f16_e64 v141, 0xbbf7, v81
	v_add_f16_e32 v30, v70, v31
	v_fmac_f16_e32 v22, 0xb836, v81
	v_add_f16_e32 v9, v17, v9
	v_fma_f16 v13, v90, 0xbacd, -v13
	v_add_f16_e64 v116, v185, v179
	v_fma_f16 v179, v104, 0x2de8, -v192
	v_add_f16_e32 v14, v63, v14
	v_and_b32_e32 v17, 0xffff, v29
	v_add_f16_e64 v74, v163, v153
	v_add_f16_e32 v19, v21, v20
	v_fma_f16 v20, v91, 0x3b76, -v154
	v_add_f16_e64 v12, v141, v12
	v_fmac_f16_e32 v127, 0xb836, v84
	v_fmac_f16_e64 v146, 0x35c8, v84
	v_add_f16_e32 v21, v22, v30
	v_fmac_f16_e32 v18, 0xb1e1, v84
	v_add_f16_e32 v9, v13, v9
	v_fma_f16 v13, v91, 0xbbdd, -v16
	v_add_f16_e64 v117, v179, v176
	v_lshl_add_u32 v16, v17, 2, v28
	v_pack_b32_f16 v10, v10, v14
	v_pack_b32_f16 v5, v5, v6
	;; [unrolled: 1-line block ×4, first 2 shown]
	v_add_f16_e32 v19, v20, v19
	v_pack_b32_f16 v17, v124, v119
	v_pack_b32_f16 v20, v122, v121
	v_add_f16_e32 v12, v127, v12
	v_add_f16_e64 v15, v146, v15
	v_add_f16_e32 v18, v18, v21
	v_pack_b32_f16 v21, v136, v133
	v_pack_b32_f16 v22, v120, v137
	v_add_f16_e32 v9, v13, v9
	ds_store_2addr_b32 v16, v5, v10 offset1:1
	ds_store_2addr_b32 v16, v14, v6 offset0:2 offset1:3
	ds_store_2addr_b32 v16, v20, v17 offset0:4 offset1:5
	;; [unrolled: 1-line block ×3, first 2 shown]
	v_pack_b32_f16 v5, v116, v115
	v_pack_b32_f16 v6, v118, v117
	;; [unrolled: 1-line block ×9, first 2 shown]
	ds_store_2addr_b32 v16, v6, v5 offset0:8 offset1:9
	ds_store_2addr_b32 v16, v13, v10 offset0:10 offset1:11
	;; [unrolled: 1-line block ×4, first 2 shown]
	ds_store_b32 v16, v9 offset:64
.LBB0_13:
	s_wait_alu 0xfffe
	s_or_b32 exec_lo, exec_lo, s0
	global_wb scope:SCOPE_SE
	s_wait_dscnt 0x0
	s_barrier_signal -1
	s_barrier_wait -1
	global_inv scope:SCOPE_SE
	ds_load_2addr_b32 v[5:6], v34 offset1:17
	ds_load_2addr_b32 v[9:10], v34 offset0:34 offset1:51
	ds_load_2addr_b32 v[11:12], v34 offset0:68 offset1:85
	;; [unrolled: 1-line block ×6, first 2 shown]
	global_wb scope:SCOPE_SE
	s_wait_dscnt 0x0
	s_barrier_signal -1
	s_barrier_wait -1
	global_inv scope:SCOPE_SE
	v_lshrrev_b32_e32 v21, 16, v5
	v_lshrrev_b32_e32 v22, 16, v9
	;; [unrolled: 1-line block ×6, first 2 shown]
	v_mul_f16_e32 v66, v48, v9
	v_mul_f16_e32 v67, v48, v22
	;; [unrolled: 1-line block ×4, first 2 shown]
	v_lshrrev_b32_e32 v32, 16, v19
	v_lshrrev_b32_e32 v61, 16, v10
	v_fma_f16 v22, v0, v22, -v66
	v_fmac_f16_e32 v67, v0, v9
	v_fmac_f16_e32 v68, v1, v11
	v_fma_f16 v9, v1, v28, -v69
	v_mul_f16_e32 v11, v46, v29
	v_mul_f16_e32 v28, v46, v13
	;; [unrolled: 1-line block ×5, first 2 shown]
	v_lshrrev_b32_e32 v62, 16, v12
	v_lshrrev_b32_e32 v63, 16, v14
	;; [unrolled: 1-line block ×3, first 2 shown]
	v_fmac_f16_e32 v11, v2, v13
	v_fma_f16 v13, v2, v29, -v28
	v_fmac_f16_e32 v66, v3, v15
	v_fma_f16 v15, v3, v30, -v69
	v_fmac_f16_e32 v71, v7, v17
	v_mul_f16_e32 v17, v44, v17
	v_mul_f16_e32 v28, v43, v32
	;; [unrolled: 1-line block ×4, first 2 shown]
	v_lshrrev_b32_e32 v65, 16, v18
	v_lshrrev_b32_e32 v70, 16, v20
	v_mul_f16_e32 v48, v48, v10
	v_fma_f16 v17, v7, v31, -v17
	v_fmac_f16_e32 v28, v8, v19
	v_fma_f16 v19, v8, v32, -v29
	v_fmac_f16_e32 v30, v0, v10
	v_mul_f16_e32 v10, v47, v62
	v_mul_f16_e32 v29, v47, v12
	;; [unrolled: 1-line block ×5, first 2 shown]
	v_fmac_f16_e32 v10, v1, v12
	v_fma_f16 v1, v1, v62, -v29
	v_fmac_f16_e32 v31, v2, v14
	v_mul_f16_e32 v12, v45, v16
	v_fmac_f16_e32 v46, v3, v16
	v_mul_f16_e32 v14, v44, v65
	v_mul_f16_e32 v16, v44, v18
	;; [unrolled: 1-line block ×3, first 2 shown]
	v_fma_f16 v2, v2, v63, -v32
	v_mul_f16_e32 v32, v43, v20
	v_fma_f16 v3, v3, v64, -v12
	v_fmac_f16_e32 v14, v7, v18
	v_fma_f16 v7, v7, v65, -v16
	v_fmac_f16_e32 v29, v8, v20
	v_add_f16_e32 v12, v67, v28
	v_add_f16_e32 v16, v22, v19
	v_sub_f16_e32 v19, v22, v19
	v_add_f16_e32 v20, v68, v71
	v_add_f16_e32 v22, v9, v17
	v_fma_f16 v8, v8, v70, -v32
	v_sub_f16_e32 v18, v67, v28
	v_sub_f16_e32 v28, v68, v71
	;; [unrolled: 1-line block ×3, first 2 shown]
	v_add_f16_e32 v17, v11, v66
	v_add_f16_e32 v32, v13, v15
	v_sub_f16_e32 v11, v66, v11
	v_sub_f16_e32 v13, v15, v13
	v_add_f16_e32 v15, v20, v12
	v_add_f16_e32 v43, v22, v16
	v_fma_f16 v0, v0, v61, -v48
	v_sub_f16_e32 v44, v20, v12
	v_sub_f16_e32 v45, v22, v16
	;; [unrolled: 1-line block ×6, first 2 shown]
	v_add_f16_e32 v47, v11, v28
	v_add_f16_e32 v48, v13, v9
	v_sub_f16_e32 v61, v11, v28
	v_sub_f16_e32 v62, v13, v9
	;; [unrolled: 1-line block ×3, first 2 shown]
	v_add_f16_e32 v15, v17, v15
	v_add_f16_e32 v17, v32, v43
	v_sub_f16_e32 v9, v9, v19
	v_sub_f16_e32 v11, v18, v11
	v_sub_f16_e32 v13, v19, v13
	v_add_f16_e32 v18, v47, v18
	v_add_f16_e32 v19, v48, v19
	;; [unrolled: 1-line block ×4, first 2 shown]
	v_mul_f16_e32 v12, 0x3a52, v12
	v_mul_f16_e32 v16, 0x3a52, v16
	;; [unrolled: 1-line block ×8, first 2 shown]
	v_fmamk_f16 v15, v15, 0xbcab, v5
	v_fmamk_f16 v17, v17, 0xbcab, v21
	;; [unrolled: 1-line block ×4, first 2 shown]
	v_fma_f16 v32, v44, 0x39e0, -v32
	v_fma_f16 v43, v45, 0x39e0, -v43
	;; [unrolled: 1-line block ×4, first 2 shown]
	v_fmamk_f16 v44, v11, 0xb574, v47
	v_fmamk_f16 v45, v13, 0xb574, v48
	v_fma_f16 v11, v11, 0x3574, -v61
	v_fma_f16 v13, v13, 0x3574, -v62
	;; [unrolled: 1-line block ×4, first 2 shown]
	v_add_f16_e32 v20, v20, v15
	v_add_f16_e32 v22, v22, v17
	;; [unrolled: 1-line block ×5, first 2 shown]
	v_fmac_f16_e32 v44, 0xb70e, v18
	v_fmac_f16_e32 v45, 0xb70e, v19
	;; [unrolled: 1-line block ×4, first 2 shown]
	v_add_f16_e32 v43, v43, v17
	v_fmac_f16_e32 v28, 0xb70e, v18
	v_fmac_f16_e32 v9, 0xb70e, v19
	v_add_f16_e32 v16, v45, v20
	v_sub_f16_e32 v17, v22, v44
	v_add_f16_e32 v18, v13, v12
	v_sub_f16_e32 v19, v15, v11
	v_sub_f16_e32 v12, v12, v13
	v_add_f16_e32 v11, v11, v15
	v_sub_f16_e32 v13, v20, v45
	v_add_f16_e32 v15, v44, v22
	v_add_f16_e32 v20, v30, v29
	;; [unrolled: 1-line block ×3, first 2 shown]
	v_sub_f16_e32 v29, v30, v29
	v_sub_f16_e32 v0, v0, v8
	v_add_f16_e32 v8, v10, v14
	v_add_f16_e32 v30, v1, v7
	v_sub_f16_e32 v47, v32, v9
	v_add_f16_e32 v9, v9, v32
	v_sub_f16_e32 v10, v10, v14
	v_sub_f16_e32 v1, v1, v7
	v_add_f16_e32 v7, v31, v46
	v_add_f16_e32 v14, v2, v3
	v_sub_f16_e32 v31, v46, v31
	v_sub_f16_e32 v2, v3, v2
	v_add_f16_e32 v3, v8, v20
	v_add_f16_e32 v32, v30, v22
	v_lshrrev_b32_e32 v33, 16, v6
	v_add_f16_e32 v48, v28, v43
	v_sub_f16_e32 v28, v43, v28
	v_sub_f16_e32 v43, v8, v20
	;; [unrolled: 1-line block ×7, first 2 shown]
	v_add_f16_e32 v45, v31, v10
	v_add_f16_e32 v46, v2, v1
	v_sub_f16_e32 v61, v31, v10
	v_sub_f16_e32 v62, v2, v1
	;; [unrolled: 1-line block ×3, first 2 shown]
	v_add_f16_e32 v3, v7, v3
	v_add_f16_e32 v7, v14, v32
	v_sub_f16_e32 v1, v1, v0
	v_sub_f16_e32 v31, v29, v31
	v_sub_f16_e32 v2, v0, v2
	v_add_f16_e32 v14, v45, v29
	v_add_f16_e32 v0, v46, v0
	v_add_f16_e32 v6, v6, v3
	v_add_f16_e32 v29, v33, v7
	v_mul_f16_e32 v20, 0x3a52, v20
	v_mul_f16_e32 v22, 0x3a52, v22
	;; [unrolled: 1-line block ×8, first 2 shown]
	v_fmamk_f16 v3, v3, 0xbcab, v6
	v_fmamk_f16 v7, v7, 0xbcab, v29
	;; [unrolled: 1-line block ×4, first 2 shown]
	v_fma_f16 v32, v43, 0x39e0, -v32
	v_fma_f16 v33, v44, 0x39e0, -v33
	v_fma_f16 v20, v43, 0xb9e0, -v20
	v_fma_f16 v22, v44, 0xb9e0, -v22
	v_fmamk_f16 v43, v31, 0xb574, v45
	v_fmamk_f16 v44, v2, 0xb574, v46
	v_fma_f16 v31, v31, 0x3574, -v61
	v_fma_f16 v2, v2, 0x3574, -v62
	;; [unrolled: 1-line block ×4, first 2 shown]
	v_add_f16_e32 v8, v8, v3
	v_add_f16_e32 v30, v30, v7
	;; [unrolled: 1-line block ×6, first 2 shown]
	v_fmac_f16_e32 v43, 0xb70e, v14
	v_fmac_f16_e32 v44, 0xb70e, v0
	;; [unrolled: 1-line block ×6, first 2 shown]
	v_pack_b32_f16 v5, v5, v21
	v_pack_b32_f16 v16, v16, v17
	;; [unrolled: 1-line block ×4, first 2 shown]
	v_add_f16_e32 v0, v44, v8
	v_sub_f16_e32 v14, v30, v43
	v_add_f16_e32 v20, v2, v3
	v_sub_f16_e32 v22, v7, v31
	v_sub_f16_e32 v45, v32, v1
	v_add_f16_e32 v46, v10, v33
	v_add_f16_e32 v1, v1, v32
	v_sub_f16_e32 v10, v33, v10
	v_sub_f16_e32 v2, v3, v2
	v_add_f16_e32 v3, v31, v7
	v_sub_f16_e32 v7, v8, v44
	v_add_f16_e32 v8, v43, v30
	ds_store_2addr_b32 v34, v5, v16 offset1:17
	ds_store_2addr_b32 v34, v17, v18 offset0:34 offset1:51
	v_pack_b32_f16 v5, v9, v28
	v_pack_b32_f16 v9, v12, v11
	;; [unrolled: 1-line block ×10, first 2 shown]
	ds_store_2addr_b32 v34, v5, v9 offset0:68 offset1:85
	ds_store_2addr_b32 v34, v11, v6 offset0:102 offset1:119
	;; [unrolled: 1-line block ×5, first 2 shown]
	global_wb scope:SCOPE_SE
	s_wait_dscnt 0x0
	s_barrier_signal -1
	s_barrier_wait -1
	global_inv scope:SCOPE_SE
	ds_load_2addr_b32 v[0:1], v34 offset1:17
	ds_load_2addr_b32 v[2:3], v34 offset0:102 offset1:119
	ds_load_2addr_b32 v[5:6], v34 offset0:136 offset1:153
	;; [unrolled: 1-line block ×6, first 2 shown]
	s_wait_dscnt 0x6
	v_lshrrev_b32_e32 v15, 16, v0
	s_wait_dscnt 0x5
	v_lshrrev_b32_e32 v16, 16, v3
	;; [unrolled: 2-line block ×3, first 2 shown]
	v_lshrrev_b32_e32 v20, 16, v6
	s_wait_dscnt 0x2
	v_lshrrev_b32_e32 v22, 16, v9
	v_lshrrev_b32_e32 v29, 16, v10
	v_mul_f16_e32 v33, v55, v16
	v_mul_f16_e32 v43, v55, v3
	;; [unrolled: 1-line block ×4, first 2 shown]
	s_wait_dscnt 0x0
	v_lshrrev_b32_e32 v31, 16, v13
	v_fmac_f16_e32 v33, v36, v3
	v_mul_f16_e32 v3, v53, v20
	v_fma_f16 v16, v36, v16, -v43
	v_fmac_f16_e32 v44, v40, v5
	v_fma_f16 v5, v40, v18, -v45
	v_mul_f16_e32 v18, v53, v6
	v_fmac_f16_e32 v3, v37, v6
	v_mul_f16_e32 v6, v52, v22
	v_mul_f16_e32 v36, v52, v9
	;; [unrolled: 1-line block ×3, first 2 shown]
	v_lshrrev_b32_e32 v17, 16, v1
	v_fma_f16 v18, v37, v20, -v18
	v_mul_f16_e32 v20, v51, v10
	v_fmac_f16_e32 v6, v39, v9
	v_fma_f16 v9, v39, v22, -v36
	v_fmac_f16_e32 v40, v41, v10
	v_mul_f16_e32 v10, v50, v31
	v_mul_f16_e32 v22, v50, v13
	v_lshrrev_b32_e32 v34, 16, v14
	v_lshrrev_b32_e32 v19, 16, v7
	v_sub_f16_e32 v16, v15, v16
	v_fmac_f16_e32 v10, v38, v13
	v_sub_f16_e32 v13, v0, v33
	v_fma_f16 v22, v38, v31, -v22
	v_sub_f16_e32 v31, v1, v44
	v_sub_f16_e32 v5, v17, v5
	v_lshrrev_b32_e32 v21, 16, v8
	v_fma_f16 v20, v41, v29, -v20
	v_mul_f16_e32 v29, v49, v34
	v_mul_f16_e32 v36, v49, v14
	v_lshrrev_b32_e32 v28, 16, v11
	v_fma_f16 v0, v0, 2.0, -v13
	v_sub_f16_e32 v3, v7, v3
	v_fma_f16 v15, v15, 2.0, -v16
	v_sub_f16_e32 v18, v19, v18
	v_fma_f16 v1, v1, 2.0, -v31
	v_fma_f16 v17, v17, 2.0, -v5
	v_lshrrev_b32_e32 v30, 16, v12
	v_sub_f16_e32 v6, v8, v6
	v_sub_f16_e32 v9, v21, v9
	v_lshrrev_b32_e32 v32, 16, v2
	v_fmac_f16_e32 v29, v42, v14
	v_fma_f16 v14, v42, v34, -v36
	v_sub_f16_e32 v33, v11, v40
	v_sub_f16_e32 v20, v28, v20
	v_fma_f16 v7, v7, 2.0, -v3
	v_fma_f16 v19, v19, 2.0, -v18
	v_pack_b32_f16 v0, v0, v15
	v_pack_b32_f16 v1, v1, v17
	v_sub_f16_e32 v10, v12, v10
	v_sub_f16_e32 v22, v30, v22
	v_pack_b32_f16 v13, v13, v16
	v_pack_b32_f16 v5, v31, v5
	v_fma_f16 v8, v8, 2.0, -v6
	v_fma_f16 v21, v21, 2.0, -v9
	v_sub_f16_e32 v29, v2, v29
	v_sub_f16_e32 v14, v32, v14
	v_fma_f16 v11, v11, 2.0, -v33
	v_fma_f16 v28, v28, 2.0, -v20
	ds_store_2addr_b32 v35, v0, v1 offset1:17
	ds_store_2addr_b32 v35, v13, v5 offset0:119 offset1:136
	v_pack_b32_f16 v0, v7, v19
	v_fma_f16 v12, v12, 2.0, -v10
	v_fma_f16 v15, v30, 2.0, -v22
	v_pack_b32_f16 v1, v3, v18
	v_pack_b32_f16 v3, v8, v21
	v_fma_f16 v2, v2, 2.0, -v29
	v_fma_f16 v16, v32, 2.0, -v14
	v_pack_b32_f16 v5, v6, v9
	v_pack_b32_f16 v6, v11, v28
	ds_store_b32 v35, v0 offset:136
	ds_store_b32 v60, v1 offset:476
	;; [unrolled: 1-line block ×5, first 2 shown]
	v_pack_b32_f16 v0, v33, v20
	v_pack_b32_f16 v1, v12, v15
	;; [unrolled: 1-line block ×5, first 2 shown]
	ds_store_b32 v58, v0 offset:476
	ds_store_b32 v35, v1 offset:340
	;; [unrolled: 1-line block ×5, first 2 shown]
	global_wb scope:SCOPE_SE
	s_wait_dscnt 0x0
	s_barrier_signal -1
	s_barrier_wait -1
	global_inv scope:SCOPE_SE
	s_and_b32 exec_lo, exec_lo, vcc_lo
	s_cbranch_execz .LBB0_15
; %bb.14:
	global_load_b32 v0, v24, s[12:13]
	ds_load_b32 v1, v35
	s_mov_b32 s8, 0x1135c811
	s_mov_b32 s9, 0x3f7135c8
	v_mad_co_u64_u32 v[7:8], null, s4, v27, 0
	s_wait_dscnt 0x0
	v_lshrrev_b32_e32 v2, 16, v1
	s_wait_loadcnt 0x0
	v_lshrrev_b32_e32 v3, 16, v0
	s_delay_alu instid0(VALU_DEP_1) | instskip(SKIP_1) | instid1(VALU_DEP_2)
	v_mul_f16_e32 v5, v2, v3
	v_mul_f16_e32 v3, v1, v3
	v_fmac_f16_e32 v5, v1, v0
	s_delay_alu instid0(VALU_DEP_2) | instskip(NEXT) | instid1(VALU_DEP_2)
	v_fma_f16 v0, v0, v2, -v3
	v_cvt_f32_f16_e32 v1, v5
	s_delay_alu instid0(VALU_DEP_2) | instskip(SKIP_1) | instid1(VALU_DEP_3)
	v_cvt_f32_f16_e32 v2, v0
	v_mad_co_u64_u32 v[5:6], null, s6, v4, 0
	v_cvt_f64_f32_e32 v[0:1], v1
	s_delay_alu instid0(VALU_DEP_3) | instskip(SKIP_1) | instid1(VALU_DEP_2)
	v_cvt_f64_f32_e32 v[2:3], v2
	s_wait_alu 0xfffe
	v_mul_f64_e32 v[0:1], s[8:9], v[0:1]
	s_delay_alu instid0(VALU_DEP_2) | instskip(NEXT) | instid1(VALU_DEP_2)
	v_mul_f64_e32 v[2:3], s[8:9], v[2:3]
	v_and_or_b32 v0, 0x1ff, v1, v0
	s_delay_alu instid0(VALU_DEP_2)
	v_and_or_b32 v2, 0x1ff, v3, v2
	v_lshrrev_b32_e32 v9, 8, v1
	v_bfe_u32 v11, v1, 20, 11
	v_bfe_u32 v12, v3, 20, 11
	v_cmp_ne_u32_e32 vcc_lo, 0, v0
	v_lshrrev_b32_e32 v10, 8, v3
	v_mov_b32_e32 v0, v8
	v_sub_nc_u32_e32 v14, 0x3f1, v11
	v_sub_nc_u32_e32 v15, 0x3f1, v12
	v_cndmask_b32_e64 v13, 0, 1, vcc_lo
	v_cmp_ne_u32_e32 vcc_lo, 0, v2
	v_add_nc_u32_e32 v12, 0xfffffc10, v12
	v_lshrrev_b32_e32 v3, 16, v3
	v_add_nc_u32_e32 v11, 0xfffffc10, v11
	v_and_or_b32 v13, 0xffe, v9, v13
	s_wait_alu 0xfffd
	v_cndmask_b32_e64 v2, 0, 1, vcc_lo
	v_mad_co_u64_u32 v[8:9], null, s7, v4, v[6:7]
	v_med3_i32 v4, v14, 0, 13
	v_med3_i32 v14, v15, 0, 13
	s_delay_alu instid0(VALU_DEP_4) | instskip(SKIP_3) | instid1(VALU_DEP_4)
	v_and_or_b32 v2, 0xffe, v10, v2
	v_or_b32_e32 v15, 0x1000, v13
	v_mad_co_u64_u32 v[9:10], null, s5, v27, v[0:1]
	v_mov_b32_e32 v6, v8
	v_or_b32_e32 v16, 0x1000, v2
	s_delay_alu instid0(VALU_DEP_4) | instskip(SKIP_2) | instid1(VALU_DEP_3)
	v_lshrrev_b32_e32 v0, v4, v15
	v_lshrrev_b32_e32 v1, 16, v1
	s_mul_u64 s[6:7], s[4:5], 56
	v_lshrrev_b32_e32 v10, v14, v16
	s_delay_alu instid0(VALU_DEP_3) | instskip(NEXT) | instid1(VALU_DEP_2)
	v_lshlrev_b32_e32 v4, v4, v0
	v_dual_mov_b32 v8, v9 :: v_dual_lshlrev_b32 v9, v14, v10
	s_delay_alu instid0(VALU_DEP_2)
	v_cmp_ne_u32_e32 vcc_lo, v4, v15
	v_lshlrev_b64_e32 v[4:5], 2, v[5:6]
	v_lshl_or_b32 v6, v11, 12, v13
	s_wait_alu 0xfffd
	v_cndmask_b32_e64 v14, 0, 1, vcc_lo
	v_cmp_ne_u32_e32 vcc_lo, v9, v16
	s_delay_alu instid0(VALU_DEP_2) | instskip(SKIP_4) | instid1(VALU_DEP_3)
	v_or_b32_e32 v0, v0, v14
	s_wait_alu 0xfffd
	v_cndmask_b32_e64 v9, 0, 1, vcc_lo
	v_cmp_gt_i32_e32 vcc_lo, 1, v11
	v_lshl_or_b32 v14, v12, 12, v2
	v_or_b32_e32 v9, v10, v9
	s_wait_alu 0xfffd
	v_cndmask_b32_e32 v0, v6, v0, vcc_lo
	v_cmp_gt_i32_e32 vcc_lo, 1, v12
	s_delay_alu instid0(VALU_DEP_2)
	v_and_b32_e32 v10, 7, v0
	s_wait_alu 0xfffd
	v_cndmask_b32_e32 v6, v14, v9, vcc_lo
	v_cmp_ne_u32_e32 vcc_lo, 0, v13
	v_lshrrev_b32_e32 v0, 2, v0
	v_cmp_eq_u32_e64 s0, 3, v10
	s_delay_alu instid0(VALU_DEP_4)
	v_and_b32_e32 v13, 7, v6
	s_wait_alu 0xfffd
	v_cndmask_b32_e64 v9, 0, 1, vcc_lo
	v_cmp_ne_u32_e32 vcc_lo, 0, v2
	v_lshrrev_b32_e32 v6, 2, v6
	v_cmp_lt_i32_e64 s1, 5, v13
	v_cmp_eq_u32_e64 s2, 3, v13
	s_wait_alu 0xfffd
	v_cndmask_b32_e64 v2, 0, 1, vcc_lo
	v_cmp_lt_i32_e32 vcc_lo, 5, v10
	v_lshl_or_b32 v9, v9, 9, 0x7c00
	s_delay_alu instid0(VALU_DEP_3)
	v_lshl_or_b32 v2, v2, 9, 0x7c00
	s_or_b32 vcc_lo, s0, vcc_lo
	s_wait_alu 0xfffe
	v_add_co_ci_u32_e32 v0, vcc_lo, 0, v0, vcc_lo
	s_or_b32 vcc_lo, s2, s1
	s_wait_alu 0xfffe
	v_add_co_ci_u32_e32 v6, vcc_lo, 0, v6, vcc_lo
	v_cmp_gt_i32_e32 vcc_lo, 31, v11
	s_wait_alu 0xfffd
	v_cndmask_b32_e32 v0, 0x7c00, v0, vcc_lo
	v_cmp_gt_i32_e32 vcc_lo, 31, v12
	s_wait_alu 0xfffd
	v_cndmask_b32_e32 v10, 0x7c00, v6, vcc_lo
	v_cmp_eq_u32_e32 vcc_lo, 0x40f, v11
	v_lshlrev_b64_e32 v[6:7], 2, v[7:8]
	s_wait_alu 0xfffd
	v_cndmask_b32_e32 v0, v0, v9, vcc_lo
	v_cmp_eq_u32_e32 vcc_lo, 0x40f, v12
	s_delay_alu instid0(VALU_DEP_2)
	v_and_or_b32 v8, 0x8000, v1, v0
	s_wait_alu 0xfffd
	v_cndmask_b32_e32 v2, v10, v2, vcc_lo
	v_add_co_u32 v0, vcc_lo, s14, v4
	s_wait_alu 0xfffd
	v_add_co_ci_u32_e32 v1, vcc_lo, s15, v5, vcc_lo
	s_delay_alu instid0(VALU_DEP_3) | instskip(SKIP_4) | instid1(VALU_DEP_3)
	v_and_or_b32 v2, 0x8000, v3, v2
	v_and_b32_e32 v5, 0xffff, v8
	v_add_co_u32 v3, vcc_lo, v0, v6
	s_wait_alu 0xfffd
	v_add_co_ci_u32_e32 v4, vcc_lo, v1, v7, vcc_lo
	v_lshl_or_b32 v2, v2, 16, v5
	global_store_b32 v[3:4], v2, off
	global_load_b32 v7, v24, s[12:13] offset:56
	v_lshl_add_u32 v2, v26, 2, v24
	ds_load_2addr_b32 v[5:6], v2 offset0:14 offset1:28
	s_wait_dscnt 0x0
	v_lshrrev_b32_e32 v8, 16, v5
	s_wait_loadcnt 0x0
	v_lshrrev_b32_e32 v9, 16, v7
	s_delay_alu instid0(VALU_DEP_1) | instskip(SKIP_1) | instid1(VALU_DEP_2)
	v_mul_f16_e32 v10, v8, v9
	v_mul_f16_e32 v9, v5, v9
	v_fmac_f16_e32 v10, v5, v7
	s_delay_alu instid0(VALU_DEP_2) | instskip(NEXT) | instid1(VALU_DEP_2)
	v_fma_f16 v5, v7, v8, -v9
	v_cvt_f32_f16_e32 v7, v10
	s_delay_alu instid0(VALU_DEP_2) | instskip(NEXT) | instid1(VALU_DEP_2)
	v_cvt_f32_f16_e32 v5, v5
	v_cvt_f64_f32_e32 v[7:8], v7
	s_delay_alu instid0(VALU_DEP_2) | instskip(NEXT) | instid1(VALU_DEP_2)
	v_cvt_f64_f32_e32 v[9:10], v5
	v_mul_f64_e32 v[7:8], s[8:9], v[7:8]
	s_delay_alu instid0(VALU_DEP_2) | instskip(NEXT) | instid1(VALU_DEP_2)
	v_mul_f64_e32 v[9:10], s[8:9], v[9:10]
	v_and_or_b32 v5, 0x1ff, v8, v7
	s_delay_alu instid0(VALU_DEP_2)
	v_and_or_b32 v9, 0x1ff, v10, v9
	v_lshrrev_b32_e32 v7, 8, v8
	v_bfe_u32 v11, v8, 20, 11
	v_lshrrev_b32_e32 v12, 8, v10
	v_cmp_ne_u32_e32 vcc_lo, 0, v5
	v_bfe_u32 v13, v10, 20, 11
	v_lshrrev_b32_e32 v8, 16, v8
	v_sub_nc_u32_e32 v14, 0x3f1, v11
	v_add_nc_u32_e32 v11, 0xfffffc10, v11
	s_wait_alu 0xfffd
	v_cndmask_b32_e64 v5, 0, 1, vcc_lo
	v_cmp_ne_u32_e32 vcc_lo, 0, v9
	v_lshrrev_b32_e32 v10, 16, v10
	s_delay_alu instid0(VALU_DEP_3) | instskip(SKIP_4) | instid1(VALU_DEP_3)
	v_and_or_b32 v5, 0xffe, v7, v5
	s_wait_alu 0xfffd
	v_cndmask_b32_e64 v9, 0, 1, vcc_lo
	v_sub_nc_u32_e32 v7, 0x3f1, v13
	v_add_nc_u32_e32 v13, 0xfffffc10, v13
	v_and_or_b32 v9, 0xffe, v12, v9
	v_med3_i32 v12, v14, 0, 13
	v_or_b32_e32 v14, 0x1000, v5
	v_med3_i32 v7, v7, 0, 13
	s_delay_alu instid0(VALU_DEP_4) | instskip(NEXT) | instid1(VALU_DEP_3)
	v_or_b32_e32 v15, 0x1000, v9
	v_lshrrev_b32_e32 v16, v12, v14
	s_delay_alu instid0(VALU_DEP_2) | instskip(NEXT) | instid1(VALU_DEP_2)
	v_lshrrev_b32_e32 v17, v7, v15
	v_lshlrev_b32_e32 v12, v12, v16
	s_delay_alu instid0(VALU_DEP_2) | instskip(NEXT) | instid1(VALU_DEP_2)
	v_lshlrev_b32_e32 v7, v7, v17
	v_cmp_ne_u32_e32 vcc_lo, v12, v14
	v_lshl_or_b32 v14, v11, 12, v5
	s_wait_alu 0xfffd
	v_cndmask_b32_e64 v12, 0, 1, vcc_lo
	v_cmp_ne_u32_e32 vcc_lo, v7, v15
	v_lshl_or_b32 v15, v13, 12, v9
	s_delay_alu instid0(VALU_DEP_3) | instskip(SKIP_3) | instid1(VALU_DEP_2)
	v_or_b32_e32 v12, v16, v12
	s_wait_alu 0xfffd
	v_cndmask_b32_e64 v7, 0, 1, vcc_lo
	v_cmp_gt_i32_e32 vcc_lo, 1, v11
	v_or_b32_e32 v7, v17, v7
	s_wait_alu 0xfffd
	v_cndmask_b32_e32 v12, v14, v12, vcc_lo
	v_cmp_gt_i32_e32 vcc_lo, 1, v13
	s_wait_alu 0xfffd
	v_cndmask_b32_e32 v7, v15, v7, vcc_lo
	v_cmp_ne_u32_e32 vcc_lo, 0, v5
	s_delay_alu instid0(VALU_DEP_2)
	v_and_b32_e32 v15, 7, v7
	s_wait_alu 0xfffd
	v_cndmask_b32_e64 v5, 0, 1, vcc_lo
	v_cmp_ne_u32_e32 vcc_lo, 0, v9
	v_lshrrev_b32_e32 v7, 2, v7
	v_cmp_lt_i32_e64 s1, 5, v15
	s_delay_alu instid0(VALU_DEP_4)
	v_lshl_or_b32 v5, v5, 9, 0x7c00
	v_and_b32_e32 v14, 7, v12
	s_wait_alu 0xfffd
	v_cndmask_b32_e64 v9, 0, 1, vcc_lo
	v_lshrrev_b32_e32 v12, 2, v12
	v_cmp_eq_u32_e64 s2, 3, v15
	v_cmp_lt_i32_e32 vcc_lo, 5, v14
	v_cmp_eq_u32_e64 s0, 3, v14
	v_lshl_or_b32 v9, v9, 9, 0x7c00
	s_delay_alu instid0(VALU_DEP_2)
	s_or_b32 vcc_lo, s0, vcc_lo
	s_wait_alu 0xfffe
	v_add_co_ci_u32_e32 v12, vcc_lo, 0, v12, vcc_lo
	s_or_b32 vcc_lo, s2, s1
	s_wait_alu 0xfffe
	v_add_co_ci_u32_e32 v7, vcc_lo, 0, v7, vcc_lo
	v_cmp_gt_i32_e32 vcc_lo, 31, v11
	s_wait_alu 0xfffd
	v_cndmask_b32_e32 v12, 0x7c00, v12, vcc_lo
	v_cmp_gt_i32_e32 vcc_lo, 31, v13
	s_wait_alu 0xfffd
	v_cndmask_b32_e32 v7, 0x7c00, v7, vcc_lo
	v_cmp_eq_u32_e32 vcc_lo, 0x40f, v11
	s_wait_alu 0xfffd
	v_cndmask_b32_e32 v5, v12, v5, vcc_lo
	v_cmp_eq_u32_e32 vcc_lo, 0x40f, v13
	s_delay_alu instid0(VALU_DEP_2)
	v_and_or_b32 v5, 0x8000, v8, v5
	s_wait_alu 0xfffd
	v_cndmask_b32_e32 v7, v7, v9, vcc_lo
	v_add_co_u32 v3, vcc_lo, v3, s6
	s_wait_alu 0xfffd
	v_add_co_ci_u32_e32 v4, vcc_lo, s7, v4, vcc_lo
	s_delay_alu instid0(VALU_DEP_3) | instskip(SKIP_1) | instid1(VALU_DEP_1)
	v_and_or_b32 v7, 0x8000, v10, v7
	v_and_b32_e32 v5, 0xffff, v5
	v_lshl_or_b32 v5, v7, 16, v5
	v_lshrrev_b32_e32 v7, 16, v6
	global_store_b32 v[3:4], v5, off
	global_load_b32 v5, v24, s[12:13] offset:112
	s_wait_loadcnt 0x0
	v_lshrrev_b32_e32 v8, 16, v5
	s_delay_alu instid0(VALU_DEP_1) | instskip(SKIP_1) | instid1(VALU_DEP_2)
	v_mul_f16_e32 v9, v7, v8
	v_mul_f16_e32 v8, v6, v8
	v_fmac_f16_e32 v9, v6, v5
	s_delay_alu instid0(VALU_DEP_2) | instskip(NEXT) | instid1(VALU_DEP_2)
	v_fma_f16 v5, v5, v7, -v8
	v_cvt_f32_f16_e32 v6, v9
	s_delay_alu instid0(VALU_DEP_2) | instskip(NEXT) | instid1(VALU_DEP_2)
	v_cvt_f32_f16_e32 v7, v5
	v_cvt_f64_f32_e32 v[5:6], v6
	s_delay_alu instid0(VALU_DEP_2) | instskip(NEXT) | instid1(VALU_DEP_2)
	v_cvt_f64_f32_e32 v[7:8], v7
	v_mul_f64_e32 v[5:6], s[8:9], v[5:6]
	s_delay_alu instid0(VALU_DEP_2) | instskip(NEXT) | instid1(VALU_DEP_2)
	v_mul_f64_e32 v[7:8], s[8:9], v[7:8]
	v_and_or_b32 v5, 0x1ff, v6, v5
	s_delay_alu instid0(VALU_DEP_2)
	v_and_or_b32 v7, 0x1ff, v8, v7
	v_lshrrev_b32_e32 v9, 8, v6
	v_bfe_u32 v10, v6, 20, 11
	v_lshrrev_b32_e32 v11, 8, v8
	v_cmp_ne_u32_e32 vcc_lo, 0, v5
	v_bfe_u32 v12, v8, 20, 11
	v_lshrrev_b32_e32 v6, 16, v6
	v_sub_nc_u32_e32 v13, 0x3f1, v10
	v_lshrrev_b32_e32 v8, 16, v8
	s_wait_alu 0xfffd
	v_cndmask_b32_e64 v5, 0, 1, vcc_lo
	v_cmp_ne_u32_e32 vcc_lo, 0, v7
	s_delay_alu instid0(VALU_DEP_2) | instskip(SKIP_4) | instid1(VALU_DEP_3)
	v_and_or_b32 v5, 0xffe, v9, v5
	s_wait_alu 0xfffd
	v_cndmask_b32_e64 v7, 0, 1, vcc_lo
	v_sub_nc_u32_e32 v9, 0x3f1, v12
	v_add_nc_u32_e32 v12, 0xfffffc10, v12
	v_and_or_b32 v7, 0xffe, v11, v7
	v_med3_i32 v11, v13, 0, 13
	v_or_b32_e32 v13, 0x1000, v5
	v_med3_i32 v9, v9, 0, 13
	s_delay_alu instid0(VALU_DEP_4) | instskip(NEXT) | instid1(VALU_DEP_3)
	v_or_b32_e32 v14, 0x1000, v7
	v_lshrrev_b32_e32 v15, v11, v13
	s_delay_alu instid0(VALU_DEP_2) | instskip(NEXT) | instid1(VALU_DEP_2)
	v_lshrrev_b32_e32 v16, v9, v14
	v_lshlrev_b32_e32 v11, v11, v15
	s_delay_alu instid0(VALU_DEP_2) | instskip(NEXT) | instid1(VALU_DEP_2)
	v_lshlrev_b32_e32 v9, v9, v16
	v_cmp_ne_u32_e32 vcc_lo, v11, v13
	s_wait_alu 0xfffd
	v_cndmask_b32_e64 v11, 0, 1, vcc_lo
	s_delay_alu instid0(VALU_DEP_3) | instskip(SKIP_1) | instid1(VALU_DEP_3)
	v_cmp_ne_u32_e32 vcc_lo, v9, v14
	v_lshl_or_b32 v14, v12, 12, v7
	v_or_b32_e32 v11, v15, v11
	s_wait_alu 0xfffd
	v_cndmask_b32_e64 v9, 0, 1, vcc_lo
	s_delay_alu instid0(VALU_DEP_1) | instskip(SKIP_1) | instid1(VALU_DEP_1)
	v_or_b32_e32 v9, v16, v9
	v_add_nc_u32_e32 v10, 0xfffffc10, v10
	v_lshl_or_b32 v13, v10, 12, v5
	v_cmp_gt_i32_e32 vcc_lo, 1, v10
	s_wait_alu 0xfffd
	s_delay_alu instid0(VALU_DEP_2) | instskip(SKIP_1) | instid1(VALU_DEP_2)
	v_cndmask_b32_e32 v11, v13, v11, vcc_lo
	v_cmp_gt_i32_e32 vcc_lo, 1, v12
	v_and_b32_e32 v13, 7, v11
	s_wait_alu 0xfffd
	v_cndmask_b32_e32 v9, v14, v9, vcc_lo
	v_cmp_ne_u32_e32 vcc_lo, 0, v5
	v_lshrrev_b32_e32 v11, 2, v11
	v_cmp_eq_u32_e64 s0, 3, v13
	s_wait_alu 0xfffd
	v_cndmask_b32_e64 v5, 0, 1, vcc_lo
	v_cmp_ne_u32_e32 vcc_lo, 0, v7
	s_delay_alu instid0(VALU_DEP_2) | instskip(SKIP_3) | instid1(VALU_DEP_2)
	v_lshl_or_b32 v5, v5, 9, 0x7c00
	s_wait_alu 0xfffd
	v_cndmask_b32_e64 v7, 0, 1, vcc_lo
	v_cmp_lt_i32_e32 vcc_lo, 5, v13
	v_lshl_or_b32 v7, v7, 9, 0x7c00
	s_or_b32 vcc_lo, s0, vcc_lo
	s_wait_alu 0xfffe
	v_add_co_ci_u32_e32 v11, vcc_lo, 0, v11, vcc_lo
	v_and_b32_e32 v14, 7, v9
	v_lshrrev_b32_e32 v9, 2, v9
	s_delay_alu instid0(VALU_DEP_2) | instskip(SKIP_1) | instid1(VALU_DEP_1)
	v_cmp_lt_i32_e64 s1, 5, v14
	v_cmp_eq_u32_e64 s2, 3, v14
	s_or_b32 vcc_lo, s2, s1
	s_wait_alu 0xfffe
	v_add_co_ci_u32_e32 v9, vcc_lo, 0, v9, vcc_lo
	v_cmp_gt_i32_e32 vcc_lo, 31, v10
	s_wait_alu 0xfffd
	v_cndmask_b32_e32 v11, 0x7c00, v11, vcc_lo
	v_cmp_gt_i32_e32 vcc_lo, 31, v12
	s_wait_alu 0xfffd
	v_cndmask_b32_e32 v9, 0x7c00, v9, vcc_lo
	v_cmp_eq_u32_e32 vcc_lo, 0x40f, v10
	s_wait_alu 0xfffd
	v_cndmask_b32_e32 v5, v11, v5, vcc_lo
	v_cmp_eq_u32_e32 vcc_lo, 0x40f, v12
	s_delay_alu instid0(VALU_DEP_2)
	v_and_or_b32 v5, 0x8000, v6, v5
	s_wait_alu 0xfffd
	v_cndmask_b32_e32 v7, v9, v7, vcc_lo
	v_add_co_u32 v3, vcc_lo, v3, s6
	s_wait_alu 0xfffd
	v_add_co_ci_u32_e32 v4, vcc_lo, s7, v4, vcc_lo
	s_delay_alu instid0(VALU_DEP_3) | instskip(SKIP_1) | instid1(VALU_DEP_1)
	v_and_or_b32 v6, 0x8000, v8, v7
	v_and_b32_e32 v5, 0xffff, v5
	v_lshl_or_b32 v5, v6, 16, v5
	global_store_b32 v[3:4], v5, off
	global_load_b32 v7, v24, s[12:13] offset:168
	ds_load_2addr_b32 v[5:6], v2 offset0:42 offset1:56
	s_wait_dscnt 0x0
	v_lshrrev_b32_e32 v8, 16, v5
	s_wait_loadcnt 0x0
	v_lshrrev_b32_e32 v9, 16, v7
	s_delay_alu instid0(VALU_DEP_1) | instskip(SKIP_1) | instid1(VALU_DEP_2)
	v_mul_f16_e32 v10, v8, v9
	v_mul_f16_e32 v9, v5, v9
	v_fmac_f16_e32 v10, v5, v7
	s_delay_alu instid0(VALU_DEP_2) | instskip(NEXT) | instid1(VALU_DEP_2)
	v_fma_f16 v5, v7, v8, -v9
	v_cvt_f32_f16_e32 v7, v10
	s_delay_alu instid0(VALU_DEP_2) | instskip(NEXT) | instid1(VALU_DEP_2)
	v_cvt_f32_f16_e32 v5, v5
	v_cvt_f64_f32_e32 v[7:8], v7
	s_delay_alu instid0(VALU_DEP_2) | instskip(NEXT) | instid1(VALU_DEP_2)
	v_cvt_f64_f32_e32 v[9:10], v5
	v_mul_f64_e32 v[7:8], s[8:9], v[7:8]
	s_delay_alu instid0(VALU_DEP_2) | instskip(NEXT) | instid1(VALU_DEP_2)
	v_mul_f64_e32 v[9:10], s[8:9], v[9:10]
	v_and_or_b32 v5, 0x1ff, v8, v7
	s_delay_alu instid0(VALU_DEP_2)
	v_and_or_b32 v9, 0x1ff, v10, v9
	v_lshrrev_b32_e32 v7, 8, v8
	v_bfe_u32 v11, v8, 20, 11
	v_lshrrev_b32_e32 v12, 8, v10
	v_cmp_ne_u32_e32 vcc_lo, 0, v5
	v_bfe_u32 v13, v10, 20, 11
	v_lshrrev_b32_e32 v8, 16, v8
	v_sub_nc_u32_e32 v14, 0x3f1, v11
	v_add_nc_u32_e32 v11, 0xfffffc10, v11
	s_wait_alu 0xfffd
	v_cndmask_b32_e64 v5, 0, 1, vcc_lo
	v_cmp_ne_u32_e32 vcc_lo, 0, v9
	v_lshrrev_b32_e32 v10, 16, v10
	s_delay_alu instid0(VALU_DEP_3) | instskip(SKIP_4) | instid1(VALU_DEP_3)
	v_and_or_b32 v5, 0xffe, v7, v5
	s_wait_alu 0xfffd
	v_cndmask_b32_e64 v9, 0, 1, vcc_lo
	v_sub_nc_u32_e32 v7, 0x3f1, v13
	v_add_nc_u32_e32 v13, 0xfffffc10, v13
	v_and_or_b32 v9, 0xffe, v12, v9
	v_med3_i32 v12, v14, 0, 13
	v_or_b32_e32 v14, 0x1000, v5
	v_med3_i32 v7, v7, 0, 13
	s_delay_alu instid0(VALU_DEP_4) | instskip(NEXT) | instid1(VALU_DEP_3)
	v_or_b32_e32 v15, 0x1000, v9
	v_lshrrev_b32_e32 v16, v12, v14
	s_delay_alu instid0(VALU_DEP_2) | instskip(NEXT) | instid1(VALU_DEP_2)
	v_lshrrev_b32_e32 v17, v7, v15
	v_lshlrev_b32_e32 v12, v12, v16
	s_delay_alu instid0(VALU_DEP_2) | instskip(NEXT) | instid1(VALU_DEP_2)
	v_lshlrev_b32_e32 v7, v7, v17
	v_cmp_ne_u32_e32 vcc_lo, v12, v14
	v_lshl_or_b32 v14, v11, 12, v5
	s_wait_alu 0xfffd
	v_cndmask_b32_e64 v12, 0, 1, vcc_lo
	v_cmp_ne_u32_e32 vcc_lo, v7, v15
	v_lshl_or_b32 v15, v13, 12, v9
	s_delay_alu instid0(VALU_DEP_3) | instskip(SKIP_3) | instid1(VALU_DEP_2)
	v_or_b32_e32 v12, v16, v12
	s_wait_alu 0xfffd
	v_cndmask_b32_e64 v7, 0, 1, vcc_lo
	v_cmp_gt_i32_e32 vcc_lo, 1, v11
	v_or_b32_e32 v7, v17, v7
	s_wait_alu 0xfffd
	v_cndmask_b32_e32 v12, v14, v12, vcc_lo
	v_cmp_gt_i32_e32 vcc_lo, 1, v13
	s_wait_alu 0xfffd
	s_delay_alu instid0(VALU_DEP_2) | instskip(SKIP_2) | instid1(VALU_DEP_3)
	v_dual_cndmask_b32 v7, v15, v7 :: v_dual_and_b32 v14, 7, v12
	v_cmp_ne_u32_e32 vcc_lo, 0, v5
	v_lshrrev_b32_e32 v12, 2, v12
	v_cmp_eq_u32_e64 s0, 3, v14
	s_delay_alu instid0(VALU_DEP_4)
	v_and_b32_e32 v15, 7, v7
	s_wait_alu 0xfffd
	v_cndmask_b32_e64 v5, 0, 1, vcc_lo
	v_cmp_ne_u32_e32 vcc_lo, 0, v9
	v_lshrrev_b32_e32 v7, 2, v7
	v_cmp_lt_i32_e64 s1, 5, v15
	v_cmp_eq_u32_e64 s2, 3, v15
	s_wait_alu 0xfffd
	v_cndmask_b32_e64 v9, 0, 1, vcc_lo
	v_cmp_lt_i32_e32 vcc_lo, 5, v14
	v_lshl_or_b32 v5, v5, 9, 0x7c00
	s_delay_alu instid0(VALU_DEP_3)
	v_lshl_or_b32 v9, v9, 9, 0x7c00
	s_or_b32 vcc_lo, s0, vcc_lo
	s_wait_alu 0xfffe
	v_add_co_ci_u32_e32 v12, vcc_lo, 0, v12, vcc_lo
	s_or_b32 vcc_lo, s2, s1
	s_wait_alu 0xfffe
	v_add_co_ci_u32_e32 v7, vcc_lo, 0, v7, vcc_lo
	v_cmp_gt_i32_e32 vcc_lo, 31, v11
	s_wait_alu 0xfffd
	v_cndmask_b32_e32 v12, 0x7c00, v12, vcc_lo
	v_cmp_gt_i32_e32 vcc_lo, 31, v13
	s_wait_alu 0xfffd
	v_cndmask_b32_e32 v7, 0x7c00, v7, vcc_lo
	v_cmp_eq_u32_e32 vcc_lo, 0x40f, v11
	s_wait_alu 0xfffd
	v_cndmask_b32_e32 v5, v12, v5, vcc_lo
	v_cmp_eq_u32_e32 vcc_lo, 0x40f, v13
	s_delay_alu instid0(VALU_DEP_2)
	v_and_or_b32 v5, 0x8000, v8, v5
	s_wait_alu 0xfffd
	v_cndmask_b32_e32 v7, v7, v9, vcc_lo
	v_add_co_u32 v3, vcc_lo, v3, s6
	s_wait_alu 0xfffd
	v_add_co_ci_u32_e32 v4, vcc_lo, s7, v4, vcc_lo
	s_delay_alu instid0(VALU_DEP_3) | instskip(SKIP_1) | instid1(VALU_DEP_1)
	v_and_or_b32 v7, 0x8000, v10, v7
	v_and_b32_e32 v5, 0xffff, v5
	v_lshl_or_b32 v5, v7, 16, v5
	v_lshrrev_b32_e32 v7, 16, v6
	global_store_b32 v[3:4], v5, off
	global_load_b32 v5, v24, s[12:13] offset:224
	s_wait_loadcnt 0x0
	v_lshrrev_b32_e32 v8, 16, v5
	s_delay_alu instid0(VALU_DEP_1) | instskip(SKIP_1) | instid1(VALU_DEP_2)
	v_mul_f16_e32 v9, v7, v8
	v_mul_f16_e32 v8, v6, v8
	v_fmac_f16_e32 v9, v6, v5
	s_delay_alu instid0(VALU_DEP_2) | instskip(NEXT) | instid1(VALU_DEP_2)
	v_fma_f16 v5, v5, v7, -v8
	v_cvt_f32_f16_e32 v6, v9
	s_delay_alu instid0(VALU_DEP_2) | instskip(NEXT) | instid1(VALU_DEP_2)
	v_cvt_f32_f16_e32 v7, v5
	v_cvt_f64_f32_e32 v[5:6], v6
	s_delay_alu instid0(VALU_DEP_2) | instskip(NEXT) | instid1(VALU_DEP_2)
	v_cvt_f64_f32_e32 v[7:8], v7
	v_mul_f64_e32 v[5:6], s[8:9], v[5:6]
	s_delay_alu instid0(VALU_DEP_2) | instskip(NEXT) | instid1(VALU_DEP_2)
	v_mul_f64_e32 v[7:8], s[8:9], v[7:8]
	v_and_or_b32 v5, 0x1ff, v6, v5
	s_delay_alu instid0(VALU_DEP_2)
	v_and_or_b32 v7, 0x1ff, v8, v7
	v_lshrrev_b32_e32 v9, 8, v6
	v_bfe_u32 v10, v6, 20, 11
	v_lshrrev_b32_e32 v11, 8, v8
	v_cmp_ne_u32_e32 vcc_lo, 0, v5
	v_bfe_u32 v12, v8, 20, 11
	v_lshrrev_b32_e32 v6, 16, v6
	v_sub_nc_u32_e32 v13, 0x3f1, v10
	v_add_nc_u32_e32 v10, 0xfffffc10, v10
	s_wait_alu 0xfffd
	v_cndmask_b32_e64 v5, 0, 1, vcc_lo
	v_cmp_ne_u32_e32 vcc_lo, 0, v7
	v_lshrrev_b32_e32 v8, 16, v8
	s_delay_alu instid0(VALU_DEP_3) | instskip(SKIP_4) | instid1(VALU_DEP_3)
	v_and_or_b32 v5, 0xffe, v9, v5
	s_wait_alu 0xfffd
	v_cndmask_b32_e64 v7, 0, 1, vcc_lo
	v_sub_nc_u32_e32 v9, 0x3f1, v12
	v_add_nc_u32_e32 v12, 0xfffffc10, v12
	v_and_or_b32 v7, 0xffe, v11, v7
	v_med3_i32 v11, v13, 0, 13
	v_or_b32_e32 v13, 0x1000, v5
	v_med3_i32 v9, v9, 0, 13
	s_delay_alu instid0(VALU_DEP_4) | instskip(NEXT) | instid1(VALU_DEP_3)
	v_or_b32_e32 v14, 0x1000, v7
	v_lshrrev_b32_e32 v15, v11, v13
	s_delay_alu instid0(VALU_DEP_2) | instskip(NEXT) | instid1(VALU_DEP_2)
	v_lshrrev_b32_e32 v16, v9, v14
	v_lshlrev_b32_e32 v11, v11, v15
	s_delay_alu instid0(VALU_DEP_2) | instskip(NEXT) | instid1(VALU_DEP_2)
	v_lshlrev_b32_e32 v9, v9, v16
	v_cmp_ne_u32_e32 vcc_lo, v11, v13
	v_lshl_or_b32 v13, v10, 12, v5
	s_wait_alu 0xfffd
	v_cndmask_b32_e64 v11, 0, 1, vcc_lo
	v_cmp_ne_u32_e32 vcc_lo, v9, v14
	v_lshl_or_b32 v14, v12, 12, v7
	s_delay_alu instid0(VALU_DEP_3) | instskip(SKIP_3) | instid1(VALU_DEP_2)
	v_or_b32_e32 v11, v15, v11
	s_wait_alu 0xfffd
	v_cndmask_b32_e64 v9, 0, 1, vcc_lo
	v_cmp_gt_i32_e32 vcc_lo, 1, v10
	v_or_b32_e32 v9, v16, v9
	s_wait_alu 0xfffd
	v_cndmask_b32_e32 v11, v13, v11, vcc_lo
	v_cmp_gt_i32_e32 vcc_lo, 1, v12
	s_delay_alu instid0(VALU_DEP_2)
	v_and_b32_e32 v13, 7, v11
	s_wait_alu 0xfffd
	v_cndmask_b32_e32 v9, v14, v9, vcc_lo
	v_cmp_ne_u32_e32 vcc_lo, 0, v5
	v_lshrrev_b32_e32 v11, 2, v11
	v_cmp_eq_u32_e64 s0, 3, v13
	s_delay_alu instid0(VALU_DEP_4)
	v_and_b32_e32 v14, 7, v9
	s_wait_alu 0xfffd
	v_cndmask_b32_e64 v5, 0, 1, vcc_lo
	v_cmp_ne_u32_e32 vcc_lo, 0, v7
	v_lshrrev_b32_e32 v9, 2, v9
	v_cmp_lt_i32_e64 s1, 5, v14
	v_cmp_eq_u32_e64 s2, 3, v14
	s_wait_alu 0xfffd
	v_cndmask_b32_e64 v7, 0, 1, vcc_lo
	v_cmp_lt_i32_e32 vcc_lo, 5, v13
	v_lshl_or_b32 v5, v5, 9, 0x7c00
	s_delay_alu instid0(VALU_DEP_3)
	v_lshl_or_b32 v7, v7, 9, 0x7c00
	s_or_b32 vcc_lo, s0, vcc_lo
	s_wait_alu 0xfffe
	v_add_co_ci_u32_e32 v11, vcc_lo, 0, v11, vcc_lo
	s_or_b32 vcc_lo, s2, s1
	s_wait_alu 0xfffe
	v_add_co_ci_u32_e32 v9, vcc_lo, 0, v9, vcc_lo
	v_cmp_gt_i32_e32 vcc_lo, 31, v10
	s_wait_alu 0xfffd
	v_cndmask_b32_e32 v11, 0x7c00, v11, vcc_lo
	v_cmp_gt_i32_e32 vcc_lo, 31, v12
	s_wait_alu 0xfffd
	v_cndmask_b32_e32 v9, 0x7c00, v9, vcc_lo
	v_cmp_eq_u32_e32 vcc_lo, 0x40f, v10
	s_wait_alu 0xfffd
	v_cndmask_b32_e32 v5, v11, v5, vcc_lo
	v_cmp_eq_u32_e32 vcc_lo, 0x40f, v12
	s_delay_alu instid0(VALU_DEP_2)
	v_and_or_b32 v5, 0x8000, v6, v5
	s_wait_alu 0xfffd
	v_cndmask_b32_e32 v7, v9, v7, vcc_lo
	v_add_co_u32 v3, vcc_lo, v3, s6
	s_wait_alu 0xfffd
	v_add_co_ci_u32_e32 v4, vcc_lo, s7, v4, vcc_lo
	s_delay_alu instid0(VALU_DEP_3) | instskip(SKIP_1) | instid1(VALU_DEP_1)
	v_and_or_b32 v6, 0x8000, v8, v7
	v_and_b32_e32 v5, 0xffff, v5
	v_lshl_or_b32 v5, v6, 16, v5
	global_store_b32 v[3:4], v5, off
	global_load_b32 v7, v24, s[12:13] offset:280
	ds_load_2addr_b32 v[5:6], v2 offset0:70 offset1:84
	s_wait_dscnt 0x0
	v_lshrrev_b32_e32 v8, 16, v5
	s_wait_loadcnt 0x0
	v_lshrrev_b32_e32 v9, 16, v7
	s_delay_alu instid0(VALU_DEP_1) | instskip(SKIP_1) | instid1(VALU_DEP_2)
	v_mul_f16_e32 v10, v8, v9
	v_mul_f16_e32 v9, v5, v9
	v_fmac_f16_e32 v10, v5, v7
	s_delay_alu instid0(VALU_DEP_2) | instskip(NEXT) | instid1(VALU_DEP_2)
	v_fma_f16 v5, v7, v8, -v9
	v_cvt_f32_f16_e32 v7, v10
	s_delay_alu instid0(VALU_DEP_2) | instskip(NEXT) | instid1(VALU_DEP_2)
	v_cvt_f32_f16_e32 v5, v5
	v_cvt_f64_f32_e32 v[7:8], v7
	s_delay_alu instid0(VALU_DEP_2) | instskip(NEXT) | instid1(VALU_DEP_2)
	v_cvt_f64_f32_e32 v[9:10], v5
	v_mul_f64_e32 v[7:8], s[8:9], v[7:8]
	s_delay_alu instid0(VALU_DEP_2) | instskip(NEXT) | instid1(VALU_DEP_2)
	v_mul_f64_e32 v[9:10], s[8:9], v[9:10]
	v_and_or_b32 v5, 0x1ff, v8, v7
	s_delay_alu instid0(VALU_DEP_2)
	v_and_or_b32 v9, 0x1ff, v10, v9
	v_lshrrev_b32_e32 v7, 8, v8
	v_bfe_u32 v11, v8, 20, 11
	v_lshrrev_b32_e32 v12, 8, v10
	v_cmp_ne_u32_e32 vcc_lo, 0, v5
	v_bfe_u32 v13, v10, 20, 11
	v_lshrrev_b32_e32 v8, 16, v8
	v_sub_nc_u32_e32 v14, 0x3f1, v11
	v_add_nc_u32_e32 v11, 0xfffffc10, v11
	s_wait_alu 0xfffd
	v_cndmask_b32_e64 v5, 0, 1, vcc_lo
	v_cmp_ne_u32_e32 vcc_lo, 0, v9
	v_lshrrev_b32_e32 v10, 16, v10
	s_delay_alu instid0(VALU_DEP_3) | instskip(SKIP_4) | instid1(VALU_DEP_3)
	v_and_or_b32 v5, 0xffe, v7, v5
	s_wait_alu 0xfffd
	v_cndmask_b32_e64 v9, 0, 1, vcc_lo
	v_sub_nc_u32_e32 v7, 0x3f1, v13
	v_add_nc_u32_e32 v13, 0xfffffc10, v13
	v_and_or_b32 v9, 0xffe, v12, v9
	v_med3_i32 v12, v14, 0, 13
	v_or_b32_e32 v14, 0x1000, v5
	v_med3_i32 v7, v7, 0, 13
	s_delay_alu instid0(VALU_DEP_4) | instskip(NEXT) | instid1(VALU_DEP_3)
	v_or_b32_e32 v15, 0x1000, v9
	v_lshrrev_b32_e32 v16, v12, v14
	s_delay_alu instid0(VALU_DEP_2) | instskip(NEXT) | instid1(VALU_DEP_2)
	v_lshrrev_b32_e32 v17, v7, v15
	v_lshlrev_b32_e32 v12, v12, v16
	s_delay_alu instid0(VALU_DEP_2) | instskip(NEXT) | instid1(VALU_DEP_2)
	v_lshlrev_b32_e32 v7, v7, v17
	v_cmp_ne_u32_e32 vcc_lo, v12, v14
	v_lshl_or_b32 v14, v11, 12, v5
	s_wait_alu 0xfffd
	v_cndmask_b32_e64 v12, 0, 1, vcc_lo
	v_cmp_ne_u32_e32 vcc_lo, v7, v15
	v_lshl_or_b32 v15, v13, 12, v9
	s_delay_alu instid0(VALU_DEP_3) | instskip(SKIP_3) | instid1(VALU_DEP_2)
	v_or_b32_e32 v12, v16, v12
	s_wait_alu 0xfffd
	v_cndmask_b32_e64 v7, 0, 1, vcc_lo
	v_cmp_gt_i32_e32 vcc_lo, 1, v11
	v_or_b32_e32 v7, v17, v7
	s_wait_alu 0xfffd
	v_cndmask_b32_e32 v12, v14, v12, vcc_lo
	v_cmp_gt_i32_e32 vcc_lo, 1, v13
	s_wait_alu 0xfffd
	s_delay_alu instid0(VALU_DEP_2) | instskip(SKIP_2) | instid1(VALU_DEP_3)
	v_dual_cndmask_b32 v7, v15, v7 :: v_dual_and_b32 v14, 7, v12
	v_cmp_ne_u32_e32 vcc_lo, 0, v5
	v_lshrrev_b32_e32 v12, 2, v12
	v_cmp_eq_u32_e64 s0, 3, v14
	s_delay_alu instid0(VALU_DEP_4)
	v_and_b32_e32 v15, 7, v7
	s_wait_alu 0xfffd
	v_cndmask_b32_e64 v5, 0, 1, vcc_lo
	v_cmp_ne_u32_e32 vcc_lo, 0, v9
	v_lshrrev_b32_e32 v7, 2, v7
	v_cmp_lt_i32_e64 s1, 5, v15
	v_cmp_eq_u32_e64 s2, 3, v15
	s_wait_alu 0xfffd
	v_cndmask_b32_e64 v9, 0, 1, vcc_lo
	v_cmp_lt_i32_e32 vcc_lo, 5, v14
	v_lshl_or_b32 v5, v5, 9, 0x7c00
	s_delay_alu instid0(VALU_DEP_3)
	v_lshl_or_b32 v9, v9, 9, 0x7c00
	s_or_b32 vcc_lo, s0, vcc_lo
	s_wait_alu 0xfffe
	v_add_co_ci_u32_e32 v12, vcc_lo, 0, v12, vcc_lo
	s_or_b32 vcc_lo, s2, s1
	s_wait_alu 0xfffe
	v_add_co_ci_u32_e32 v7, vcc_lo, 0, v7, vcc_lo
	v_cmp_gt_i32_e32 vcc_lo, 31, v11
	s_wait_alu 0xfffd
	v_cndmask_b32_e32 v12, 0x7c00, v12, vcc_lo
	v_cmp_gt_i32_e32 vcc_lo, 31, v13
	s_wait_alu 0xfffd
	v_cndmask_b32_e32 v7, 0x7c00, v7, vcc_lo
	v_cmp_eq_u32_e32 vcc_lo, 0x40f, v11
	s_wait_alu 0xfffd
	v_cndmask_b32_e32 v5, v12, v5, vcc_lo
	v_cmp_eq_u32_e32 vcc_lo, 0x40f, v13
	s_delay_alu instid0(VALU_DEP_2)
	v_and_or_b32 v5, 0x8000, v8, v5
	s_wait_alu 0xfffd
	v_cndmask_b32_e32 v7, v7, v9, vcc_lo
	v_add_co_u32 v3, vcc_lo, v3, s6
	s_wait_alu 0xfffd
	v_add_co_ci_u32_e32 v4, vcc_lo, s7, v4, vcc_lo
	s_delay_alu instid0(VALU_DEP_3) | instskip(SKIP_1) | instid1(VALU_DEP_1)
	v_and_or_b32 v7, 0x8000, v10, v7
	v_and_b32_e32 v5, 0xffff, v5
	v_lshl_or_b32 v5, v7, 16, v5
	v_lshrrev_b32_e32 v7, 16, v6
	global_store_b32 v[3:4], v5, off
	global_load_b32 v5, v24, s[12:13] offset:336
	s_wait_loadcnt 0x0
	v_lshrrev_b32_e32 v8, 16, v5
	s_delay_alu instid0(VALU_DEP_1) | instskip(SKIP_1) | instid1(VALU_DEP_2)
	v_mul_f16_e32 v9, v7, v8
	v_mul_f16_e32 v8, v6, v8
	v_fmac_f16_e32 v9, v6, v5
	s_delay_alu instid0(VALU_DEP_2) | instskip(NEXT) | instid1(VALU_DEP_2)
	v_fma_f16 v5, v5, v7, -v8
	v_cvt_f32_f16_e32 v6, v9
	s_delay_alu instid0(VALU_DEP_2) | instskip(NEXT) | instid1(VALU_DEP_2)
	v_cvt_f32_f16_e32 v7, v5
	v_cvt_f64_f32_e32 v[5:6], v6
	s_delay_alu instid0(VALU_DEP_2) | instskip(NEXT) | instid1(VALU_DEP_2)
	v_cvt_f64_f32_e32 v[7:8], v7
	v_mul_f64_e32 v[5:6], s[8:9], v[5:6]
	s_delay_alu instid0(VALU_DEP_2) | instskip(NEXT) | instid1(VALU_DEP_2)
	v_mul_f64_e32 v[7:8], s[8:9], v[7:8]
	v_and_or_b32 v5, 0x1ff, v6, v5
	s_delay_alu instid0(VALU_DEP_2)
	v_and_or_b32 v7, 0x1ff, v8, v7
	v_lshrrev_b32_e32 v9, 8, v6
	v_bfe_u32 v10, v6, 20, 11
	v_lshrrev_b32_e32 v11, 8, v8
	v_cmp_ne_u32_e32 vcc_lo, 0, v5
	v_bfe_u32 v12, v8, 20, 11
	v_lshrrev_b32_e32 v6, 16, v6
	v_sub_nc_u32_e32 v13, 0x3f1, v10
	v_add_nc_u32_e32 v10, 0xfffffc10, v10
	s_wait_alu 0xfffd
	v_cndmask_b32_e64 v5, 0, 1, vcc_lo
	v_cmp_ne_u32_e32 vcc_lo, 0, v7
	v_lshrrev_b32_e32 v8, 16, v8
	s_delay_alu instid0(VALU_DEP_3) | instskip(SKIP_4) | instid1(VALU_DEP_3)
	v_and_or_b32 v5, 0xffe, v9, v5
	s_wait_alu 0xfffd
	v_cndmask_b32_e64 v7, 0, 1, vcc_lo
	v_sub_nc_u32_e32 v9, 0x3f1, v12
	v_add_nc_u32_e32 v12, 0xfffffc10, v12
	v_and_or_b32 v7, 0xffe, v11, v7
	v_med3_i32 v11, v13, 0, 13
	v_or_b32_e32 v13, 0x1000, v5
	v_med3_i32 v9, v9, 0, 13
	s_delay_alu instid0(VALU_DEP_4) | instskip(NEXT) | instid1(VALU_DEP_3)
	v_or_b32_e32 v14, 0x1000, v7
	v_lshrrev_b32_e32 v15, v11, v13
	s_delay_alu instid0(VALU_DEP_2) | instskip(NEXT) | instid1(VALU_DEP_2)
	v_lshrrev_b32_e32 v16, v9, v14
	v_lshlrev_b32_e32 v11, v11, v15
	s_delay_alu instid0(VALU_DEP_2) | instskip(NEXT) | instid1(VALU_DEP_2)
	v_lshlrev_b32_e32 v9, v9, v16
	v_cmp_ne_u32_e32 vcc_lo, v11, v13
	v_lshl_or_b32 v13, v10, 12, v5
	s_wait_alu 0xfffd
	v_cndmask_b32_e64 v11, 0, 1, vcc_lo
	v_cmp_ne_u32_e32 vcc_lo, v9, v14
	v_lshl_or_b32 v14, v12, 12, v7
	s_delay_alu instid0(VALU_DEP_3) | instskip(SKIP_3) | instid1(VALU_DEP_2)
	v_or_b32_e32 v11, v15, v11
	s_wait_alu 0xfffd
	v_cndmask_b32_e64 v9, 0, 1, vcc_lo
	v_cmp_gt_i32_e32 vcc_lo, 1, v10
	v_or_b32_e32 v9, v16, v9
	s_wait_alu 0xfffd
	v_cndmask_b32_e32 v11, v13, v11, vcc_lo
	v_cmp_gt_i32_e32 vcc_lo, 1, v12
	s_delay_alu instid0(VALU_DEP_2)
	v_and_b32_e32 v13, 7, v11
	s_wait_alu 0xfffd
	v_cndmask_b32_e32 v9, v14, v9, vcc_lo
	v_cmp_ne_u32_e32 vcc_lo, 0, v5
	v_lshrrev_b32_e32 v11, 2, v11
	v_cmp_eq_u32_e64 s0, 3, v13
	s_delay_alu instid0(VALU_DEP_4)
	v_and_b32_e32 v14, 7, v9
	s_wait_alu 0xfffd
	v_cndmask_b32_e64 v5, 0, 1, vcc_lo
	v_cmp_ne_u32_e32 vcc_lo, 0, v7
	v_lshrrev_b32_e32 v9, 2, v9
	v_cmp_lt_i32_e64 s1, 5, v14
	v_cmp_eq_u32_e64 s2, 3, v14
	s_wait_alu 0xfffd
	v_cndmask_b32_e64 v7, 0, 1, vcc_lo
	v_cmp_lt_i32_e32 vcc_lo, 5, v13
	v_lshl_or_b32 v5, v5, 9, 0x7c00
	s_delay_alu instid0(VALU_DEP_3)
	v_lshl_or_b32 v7, v7, 9, 0x7c00
	s_or_b32 vcc_lo, s0, vcc_lo
	s_wait_alu 0xfffe
	v_add_co_ci_u32_e32 v11, vcc_lo, 0, v11, vcc_lo
	s_or_b32 vcc_lo, s2, s1
	s_wait_alu 0xfffe
	v_add_co_ci_u32_e32 v9, vcc_lo, 0, v9, vcc_lo
	v_cmp_gt_i32_e32 vcc_lo, 31, v10
	s_wait_alu 0xfffd
	v_cndmask_b32_e32 v11, 0x7c00, v11, vcc_lo
	v_cmp_gt_i32_e32 vcc_lo, 31, v12
	s_wait_alu 0xfffd
	v_cndmask_b32_e32 v9, 0x7c00, v9, vcc_lo
	v_cmp_eq_u32_e32 vcc_lo, 0x40f, v10
	s_wait_alu 0xfffd
	v_cndmask_b32_e32 v5, v11, v5, vcc_lo
	v_cmp_eq_u32_e32 vcc_lo, 0x40f, v12
	s_delay_alu instid0(VALU_DEP_2)
	v_and_or_b32 v5, 0x8000, v6, v5
	s_wait_alu 0xfffd
	v_cndmask_b32_e32 v7, v9, v7, vcc_lo
	v_add_co_u32 v3, vcc_lo, v3, s6
	s_wait_alu 0xfffd
	v_add_co_ci_u32_e32 v4, vcc_lo, s7, v4, vcc_lo
	s_delay_alu instid0(VALU_DEP_3) | instskip(SKIP_1) | instid1(VALU_DEP_1)
	v_and_or_b32 v6, 0x8000, v8, v7
	v_and_b32_e32 v5, 0xffff, v5
	v_lshl_or_b32 v5, v6, 16, v5
	global_store_b32 v[3:4], v5, off
	global_load_b32 v7, v24, s[12:13] offset:392
	ds_load_2addr_b32 v[5:6], v2 offset0:98 offset1:112
	s_wait_dscnt 0x0
	v_lshrrev_b32_e32 v8, 16, v5
	s_wait_loadcnt 0x0
	v_lshrrev_b32_e32 v9, 16, v7
	s_delay_alu instid0(VALU_DEP_1) | instskip(SKIP_1) | instid1(VALU_DEP_2)
	v_mul_f16_e32 v10, v8, v9
	v_mul_f16_e32 v9, v5, v9
	v_fmac_f16_e32 v10, v5, v7
	s_delay_alu instid0(VALU_DEP_2) | instskip(NEXT) | instid1(VALU_DEP_2)
	v_fma_f16 v5, v7, v8, -v9
	v_cvt_f32_f16_e32 v7, v10
	s_delay_alu instid0(VALU_DEP_2) | instskip(NEXT) | instid1(VALU_DEP_2)
	v_cvt_f32_f16_e32 v5, v5
	v_cvt_f64_f32_e32 v[7:8], v7
	s_delay_alu instid0(VALU_DEP_2) | instskip(NEXT) | instid1(VALU_DEP_2)
	v_cvt_f64_f32_e32 v[9:10], v5
	v_mul_f64_e32 v[7:8], s[8:9], v[7:8]
	s_delay_alu instid0(VALU_DEP_2) | instskip(NEXT) | instid1(VALU_DEP_2)
	v_mul_f64_e32 v[9:10], s[8:9], v[9:10]
	v_and_or_b32 v5, 0x1ff, v8, v7
	s_delay_alu instid0(VALU_DEP_2)
	v_and_or_b32 v9, 0x1ff, v10, v9
	v_lshrrev_b32_e32 v7, 8, v8
	v_bfe_u32 v11, v8, 20, 11
	v_lshrrev_b32_e32 v12, 8, v10
	v_cmp_ne_u32_e32 vcc_lo, 0, v5
	v_bfe_u32 v13, v10, 20, 11
	v_lshrrev_b32_e32 v8, 16, v8
	v_sub_nc_u32_e32 v14, 0x3f1, v11
	v_add_nc_u32_e32 v11, 0xfffffc10, v11
	s_wait_alu 0xfffd
	v_cndmask_b32_e64 v5, 0, 1, vcc_lo
	v_cmp_ne_u32_e32 vcc_lo, 0, v9
	v_lshrrev_b32_e32 v10, 16, v10
	s_delay_alu instid0(VALU_DEP_3) | instskip(SKIP_4) | instid1(VALU_DEP_3)
	v_and_or_b32 v5, 0xffe, v7, v5
	s_wait_alu 0xfffd
	v_cndmask_b32_e64 v9, 0, 1, vcc_lo
	v_sub_nc_u32_e32 v7, 0x3f1, v13
	v_add_nc_u32_e32 v13, 0xfffffc10, v13
	v_and_or_b32 v9, 0xffe, v12, v9
	v_med3_i32 v12, v14, 0, 13
	v_or_b32_e32 v14, 0x1000, v5
	v_med3_i32 v7, v7, 0, 13
	s_delay_alu instid0(VALU_DEP_4) | instskip(NEXT) | instid1(VALU_DEP_3)
	v_or_b32_e32 v15, 0x1000, v9
	v_lshrrev_b32_e32 v16, v12, v14
	s_delay_alu instid0(VALU_DEP_2) | instskip(NEXT) | instid1(VALU_DEP_2)
	v_lshrrev_b32_e32 v17, v7, v15
	v_lshlrev_b32_e32 v12, v12, v16
	s_delay_alu instid0(VALU_DEP_2) | instskip(NEXT) | instid1(VALU_DEP_2)
	v_lshlrev_b32_e32 v7, v7, v17
	v_cmp_ne_u32_e32 vcc_lo, v12, v14
	v_lshl_or_b32 v14, v11, 12, v5
	s_wait_alu 0xfffd
	v_cndmask_b32_e64 v12, 0, 1, vcc_lo
	v_cmp_ne_u32_e32 vcc_lo, v7, v15
	v_lshl_or_b32 v15, v13, 12, v9
	s_delay_alu instid0(VALU_DEP_3) | instskip(SKIP_3) | instid1(VALU_DEP_2)
	v_or_b32_e32 v12, v16, v12
	s_wait_alu 0xfffd
	v_cndmask_b32_e64 v7, 0, 1, vcc_lo
	v_cmp_gt_i32_e32 vcc_lo, 1, v11
	v_or_b32_e32 v7, v17, v7
	s_wait_alu 0xfffd
	v_cndmask_b32_e32 v12, v14, v12, vcc_lo
	v_cmp_gt_i32_e32 vcc_lo, 1, v13
	s_wait_alu 0xfffd
	s_delay_alu instid0(VALU_DEP_2) | instskip(SKIP_2) | instid1(VALU_DEP_3)
	v_dual_cndmask_b32 v7, v15, v7 :: v_dual_and_b32 v14, 7, v12
	v_cmp_ne_u32_e32 vcc_lo, 0, v5
	v_lshrrev_b32_e32 v12, 2, v12
	v_cmp_eq_u32_e64 s0, 3, v14
	s_delay_alu instid0(VALU_DEP_4)
	v_and_b32_e32 v15, 7, v7
	s_wait_alu 0xfffd
	v_cndmask_b32_e64 v5, 0, 1, vcc_lo
	v_cmp_ne_u32_e32 vcc_lo, 0, v9
	v_lshrrev_b32_e32 v7, 2, v7
	v_cmp_lt_i32_e64 s1, 5, v15
	v_cmp_eq_u32_e64 s2, 3, v15
	s_wait_alu 0xfffd
	v_cndmask_b32_e64 v9, 0, 1, vcc_lo
	v_cmp_lt_i32_e32 vcc_lo, 5, v14
	v_lshl_or_b32 v5, v5, 9, 0x7c00
	s_delay_alu instid0(VALU_DEP_3)
	v_lshl_or_b32 v9, v9, 9, 0x7c00
	s_or_b32 vcc_lo, s0, vcc_lo
	s_wait_alu 0xfffe
	v_add_co_ci_u32_e32 v12, vcc_lo, 0, v12, vcc_lo
	s_or_b32 vcc_lo, s2, s1
	s_wait_alu 0xfffe
	v_add_co_ci_u32_e32 v7, vcc_lo, 0, v7, vcc_lo
	v_cmp_gt_i32_e32 vcc_lo, 31, v11
	s_wait_alu 0xfffd
	v_cndmask_b32_e32 v12, 0x7c00, v12, vcc_lo
	v_cmp_gt_i32_e32 vcc_lo, 31, v13
	s_wait_alu 0xfffd
	v_cndmask_b32_e32 v7, 0x7c00, v7, vcc_lo
	v_cmp_eq_u32_e32 vcc_lo, 0x40f, v11
	s_wait_alu 0xfffd
	v_cndmask_b32_e32 v5, v12, v5, vcc_lo
	v_cmp_eq_u32_e32 vcc_lo, 0x40f, v13
	s_delay_alu instid0(VALU_DEP_2)
	v_and_or_b32 v5, 0x8000, v8, v5
	s_wait_alu 0xfffd
	v_cndmask_b32_e32 v7, v7, v9, vcc_lo
	v_add_co_u32 v3, vcc_lo, v3, s6
	s_wait_alu 0xfffd
	v_add_co_ci_u32_e32 v4, vcc_lo, s7, v4, vcc_lo
	s_delay_alu instid0(VALU_DEP_3) | instskip(SKIP_1) | instid1(VALU_DEP_1)
	v_and_or_b32 v7, 0x8000, v10, v7
	v_and_b32_e32 v5, 0xffff, v5
	v_lshl_or_b32 v5, v7, 16, v5
	v_lshrrev_b32_e32 v7, 16, v6
	global_store_b32 v[3:4], v5, off
	global_load_b32 v5, v24, s[12:13] offset:448
	v_mad_co_u64_u32 v[3:4], null, 0x70, s4, v[3:4]
	s_wait_loadcnt 0x0
	v_lshrrev_b32_e32 v8, 16, v5
	s_delay_alu instid0(VALU_DEP_1) | instskip(SKIP_1) | instid1(VALU_DEP_2)
	v_mul_f16_e32 v9, v7, v8
	v_mul_f16_e32 v8, v6, v8
	v_fmac_f16_e32 v9, v6, v5
	s_delay_alu instid0(VALU_DEP_2) | instskip(NEXT) | instid1(VALU_DEP_2)
	v_fma_f16 v5, v5, v7, -v8
	v_cvt_f32_f16_e32 v6, v9
	s_delay_alu instid0(VALU_DEP_2) | instskip(NEXT) | instid1(VALU_DEP_2)
	v_cvt_f32_f16_e32 v7, v5
	v_cvt_f64_f32_e32 v[5:6], v6
	s_delay_alu instid0(VALU_DEP_2) | instskip(NEXT) | instid1(VALU_DEP_2)
	v_cvt_f64_f32_e32 v[7:8], v7
	v_mul_f64_e32 v[5:6], s[8:9], v[5:6]
	s_delay_alu instid0(VALU_DEP_2) | instskip(NEXT) | instid1(VALU_DEP_2)
	v_mul_f64_e32 v[7:8], s[8:9], v[7:8]
	v_and_or_b32 v5, 0x1ff, v6, v5
	s_delay_alu instid0(VALU_DEP_2)
	v_and_or_b32 v7, 0x1ff, v8, v7
	v_lshrrev_b32_e32 v9, 8, v6
	v_bfe_u32 v11, v6, 20, 11
	v_bfe_u32 v12, v8, 20, 11
	v_cmp_ne_u32_e32 vcc_lo, 0, v5
	v_lshrrev_b32_e32 v10, 8, v8
	v_lshrrev_b32_e32 v8, 16, v8
	v_sub_nc_u32_e32 v13, 0x3f1, v11
	v_sub_nc_u32_e32 v14, 0x3f1, v12
	s_wait_alu 0xfffd
	v_cndmask_b32_e64 v5, 0, 1, vcc_lo
	v_cmp_ne_u32_e32 vcc_lo, 0, v7
	v_add_nc_u32_e32 v12, 0xfffffc10, v12
	s_delay_alu instid0(VALU_DEP_3)
	v_and_or_b32 v15, 0xffe, v9, v5
	s_wait_alu 0xfffd
	v_cndmask_b32_e64 v7, 0, 1, vcc_lo
	v_med3_i32 v5, v13, 0, 13
	v_med3_i32 v13, v14, 0, 13
	v_or_b32_e32 v14, 0x1000, v15
	s_delay_alu instid0(VALU_DEP_4) | instskip(SKIP_1) | instid1(VALU_DEP_3)
	v_and_or_b32 v7, 0xffe, v10, v7
	v_mad_co_u64_u32 v[9:10], null, s4, v25, 0
	v_lshrrev_b32_e32 v17, v5, v14
	s_delay_alu instid0(VALU_DEP_3) | instskip(NEXT) | instid1(VALU_DEP_2)
	v_or_b32_e32 v16, 0x1000, v7
	v_lshlrev_b32_e32 v19, v5, v17
	s_delay_alu instid0(VALU_DEP_2) | instskip(SKIP_1) | instid1(VALU_DEP_3)
	v_lshrrev_b32_e32 v18, v13, v16
	v_mov_b32_e32 v5, v10
	v_cmp_ne_u32_e32 vcc_lo, v19, v14
	s_delay_alu instid0(VALU_DEP_3) | instskip(SKIP_3) | instid1(VALU_DEP_3)
	v_lshlrev_b32_e32 v10, v13, v18
	v_add_nc_u32_e32 v13, 0xfffffc10, v11
	s_wait_alu 0xfffd
	v_cndmask_b32_e64 v14, 0, 1, vcc_lo
	v_cmp_ne_u32_e32 vcc_lo, v10, v16
	v_mad_co_u64_u32 v[10:11], null, s5, v25, v[5:6]
	v_lshl_or_b32 v5, v13, 12, v15
	s_delay_alu instid0(VALU_DEP_4)
	v_or_b32_e32 v11, v17, v14
	s_wait_alu 0xfffd
	v_cndmask_b32_e64 v16, 0, 1, vcc_lo
	v_cmp_gt_i32_e32 vcc_lo, 1, v13
	v_lshl_or_b32 v14, v12, 12, v7
	v_lshrrev_b32_e32 v6, 16, v6
	s_delay_alu instid0(VALU_DEP_4)
	v_or_b32_e32 v16, v18, v16
	s_wait_alu 0xfffd
	v_cndmask_b32_e32 v5, v5, v11, vcc_lo
	v_cmp_gt_i32_e32 vcc_lo, 1, v12
	s_wait_alu 0xfffd
	v_cndmask_b32_e32 v11, v14, v16, vcc_lo
	v_cmp_ne_u32_e32 vcc_lo, 0, v15
	v_and_b32_e32 v15, 7, v5
	v_lshrrev_b32_e32 v5, 2, v5
	s_delay_alu instid0(VALU_DEP_4)
	v_and_b32_e32 v16, 7, v11
	s_wait_alu 0xfffd
	v_cndmask_b32_e64 v14, 0, 1, vcc_lo
	v_cmp_ne_u32_e32 vcc_lo, 0, v7
	v_cmp_eq_u32_e64 s0, 3, v15
	v_lshrrev_b32_e32 v11, 2, v11
	v_cmp_lt_i32_e64 s1, 5, v16
	v_cmp_eq_u32_e64 s2, 3, v16
	s_wait_alu 0xfffd
	v_cndmask_b32_e64 v7, 0, 1, vcc_lo
	v_cmp_lt_i32_e32 vcc_lo, 5, v15
	v_lshl_or_b32 v14, v14, 9, 0x7c00
	s_delay_alu instid0(VALU_DEP_3)
	v_lshl_or_b32 v7, v7, 9, 0x7c00
	s_or_b32 vcc_lo, s0, vcc_lo
	s_wait_alu 0xfffe
	v_add_co_ci_u32_e32 v5, vcc_lo, 0, v5, vcc_lo
	s_or_b32 vcc_lo, s2, s1
	s_wait_alu 0xfffe
	v_add_co_ci_u32_e32 v11, vcc_lo, 0, v11, vcc_lo
	v_cmp_gt_i32_e32 vcc_lo, 31, v13
	s_wait_alu 0xfffd
	v_cndmask_b32_e32 v5, 0x7c00, v5, vcc_lo
	v_cmp_gt_i32_e32 vcc_lo, 31, v12
	s_wait_alu 0xfffd
	v_cndmask_b32_e32 v11, 0x7c00, v11, vcc_lo
	v_cmp_eq_u32_e32 vcc_lo, 0x40f, v13
	s_wait_alu 0xfffd
	v_cndmask_b32_e32 v5, v5, v14, vcc_lo
	v_cmp_eq_u32_e32 vcc_lo, 0x40f, v12
	s_wait_alu 0xfffd
	v_cndmask_b32_e32 v7, v11, v7, vcc_lo
	s_delay_alu instid0(VALU_DEP_3) | instskip(SKIP_1) | instid1(VALU_DEP_3)
	v_and_or_b32 v11, 0x8000, v6, v5
	v_lshlrev_b64_e32 v[5:6], 2, v[9:10]
	v_and_or_b32 v7, 0x8000, v8, v7
	s_delay_alu instid0(VALU_DEP_3) | instskip(NEXT) | instid1(VALU_DEP_3)
	v_and_b32_e32 v8, 0xffff, v11
	v_add_co_u32 v5, vcc_lo, v0, v5
	s_wait_alu 0xfffd
	s_delay_alu instid0(VALU_DEP_4) | instskip(NEXT) | instid1(VALU_DEP_3)
	v_add_co_ci_u32_e32 v6, vcc_lo, v1, v6, vcc_lo
	v_lshl_or_b32 v7, v7, 16, v8
	global_store_b32 v[5:6], v7, off
	global_load_b32 v7, v24, s[12:13] offset:504
	ds_load_2addr_b32 v[5:6], v2 offset0:126 offset1:140
	s_wait_dscnt 0x0
	v_lshrrev_b32_e32 v8, 16, v5
	s_wait_loadcnt 0x0
	v_lshrrev_b32_e32 v9, 16, v7
	s_delay_alu instid0(VALU_DEP_1) | instskip(SKIP_1) | instid1(VALU_DEP_2)
	v_mul_f16_e32 v10, v8, v9
	v_mul_f16_e32 v9, v5, v9
	v_fmac_f16_e32 v10, v5, v7
	s_delay_alu instid0(VALU_DEP_2) | instskip(NEXT) | instid1(VALU_DEP_2)
	v_fma_f16 v5, v7, v8, -v9
	v_cvt_f32_f16_e32 v7, v10
	s_delay_alu instid0(VALU_DEP_2) | instskip(NEXT) | instid1(VALU_DEP_2)
	v_cvt_f32_f16_e32 v5, v5
	v_cvt_f64_f32_e32 v[7:8], v7
	s_delay_alu instid0(VALU_DEP_2) | instskip(NEXT) | instid1(VALU_DEP_2)
	v_cvt_f64_f32_e32 v[9:10], v5
	v_mul_f64_e32 v[7:8], s[8:9], v[7:8]
	s_delay_alu instid0(VALU_DEP_2) | instskip(NEXT) | instid1(VALU_DEP_2)
	v_mul_f64_e32 v[9:10], s[8:9], v[9:10]
	v_and_or_b32 v5, 0x1ff, v8, v7
	s_delay_alu instid0(VALU_DEP_2)
	v_and_or_b32 v9, 0x1ff, v10, v9
	v_lshrrev_b32_e32 v7, 8, v8
	v_bfe_u32 v11, v8, 20, 11
	v_lshrrev_b32_e32 v12, 8, v10
	v_cmp_ne_u32_e32 vcc_lo, 0, v5
	v_bfe_u32 v13, v10, 20, 11
	v_lshrrev_b32_e32 v8, 16, v8
	v_sub_nc_u32_e32 v14, 0x3f1, v11
	v_add_nc_u32_e32 v11, 0xfffffc10, v11
	s_wait_alu 0xfffd
	v_cndmask_b32_e64 v5, 0, 1, vcc_lo
	v_cmp_ne_u32_e32 vcc_lo, 0, v9
	v_lshrrev_b32_e32 v10, 16, v10
	s_delay_alu instid0(VALU_DEP_3) | instskip(SKIP_4) | instid1(VALU_DEP_3)
	v_and_or_b32 v5, 0xffe, v7, v5
	s_wait_alu 0xfffd
	v_cndmask_b32_e64 v9, 0, 1, vcc_lo
	v_sub_nc_u32_e32 v7, 0x3f1, v13
	v_add_nc_u32_e32 v13, 0xfffffc10, v13
	v_and_or_b32 v9, 0xffe, v12, v9
	v_med3_i32 v12, v14, 0, 13
	v_or_b32_e32 v14, 0x1000, v5
	v_med3_i32 v7, v7, 0, 13
	s_delay_alu instid0(VALU_DEP_4) | instskip(NEXT) | instid1(VALU_DEP_3)
	v_or_b32_e32 v15, 0x1000, v9
	v_lshrrev_b32_e32 v16, v12, v14
	s_delay_alu instid0(VALU_DEP_2) | instskip(NEXT) | instid1(VALU_DEP_2)
	v_lshrrev_b32_e32 v17, v7, v15
	v_lshlrev_b32_e32 v12, v12, v16
	s_delay_alu instid0(VALU_DEP_2) | instskip(NEXT) | instid1(VALU_DEP_2)
	v_lshlrev_b32_e32 v7, v7, v17
	v_cmp_ne_u32_e32 vcc_lo, v12, v14
	v_lshl_or_b32 v14, v11, 12, v5
	s_wait_alu 0xfffd
	v_cndmask_b32_e64 v12, 0, 1, vcc_lo
	v_cmp_ne_u32_e32 vcc_lo, v7, v15
	v_lshl_or_b32 v15, v13, 12, v9
	s_delay_alu instid0(VALU_DEP_3) | instskip(SKIP_3) | instid1(VALU_DEP_2)
	v_or_b32_e32 v12, v16, v12
	s_wait_alu 0xfffd
	v_cndmask_b32_e64 v7, 0, 1, vcc_lo
	v_cmp_gt_i32_e32 vcc_lo, 1, v11
	v_or_b32_e32 v7, v17, v7
	s_wait_alu 0xfffd
	v_cndmask_b32_e32 v12, v14, v12, vcc_lo
	v_cmp_gt_i32_e32 vcc_lo, 1, v13
	s_wait_alu 0xfffd
	s_delay_alu instid0(VALU_DEP_2) | instskip(SKIP_2) | instid1(VALU_DEP_3)
	v_dual_cndmask_b32 v7, v15, v7 :: v_dual_and_b32 v14, 7, v12
	v_cmp_ne_u32_e32 vcc_lo, 0, v5
	v_lshrrev_b32_e32 v12, 2, v12
	v_cmp_eq_u32_e64 s0, 3, v14
	s_delay_alu instid0(VALU_DEP_4)
	v_and_b32_e32 v15, 7, v7
	s_wait_alu 0xfffd
	v_cndmask_b32_e64 v5, 0, 1, vcc_lo
	v_cmp_ne_u32_e32 vcc_lo, 0, v9
	v_lshrrev_b32_e32 v7, 2, v7
	v_cmp_lt_i32_e64 s1, 5, v15
	v_cmp_eq_u32_e64 s2, 3, v15
	s_wait_alu 0xfffd
	v_cndmask_b32_e64 v9, 0, 1, vcc_lo
	v_cmp_lt_i32_e32 vcc_lo, 5, v14
	v_lshl_or_b32 v5, v5, 9, 0x7c00
	s_delay_alu instid0(VALU_DEP_3)
	v_lshl_or_b32 v9, v9, 9, 0x7c00
	s_or_b32 vcc_lo, s0, vcc_lo
	s_wait_alu 0xfffe
	v_add_co_ci_u32_e32 v12, vcc_lo, 0, v12, vcc_lo
	s_or_b32 vcc_lo, s2, s1
	s_wait_alu 0xfffe
	v_add_co_ci_u32_e32 v7, vcc_lo, 0, v7, vcc_lo
	v_cmp_gt_i32_e32 vcc_lo, 31, v11
	s_wait_alu 0xfffd
	v_cndmask_b32_e32 v12, 0x7c00, v12, vcc_lo
	v_cmp_gt_i32_e32 vcc_lo, 31, v13
	s_wait_alu 0xfffd
	v_cndmask_b32_e32 v7, 0x7c00, v7, vcc_lo
	v_cmp_eq_u32_e32 vcc_lo, 0x40f, v11
	s_wait_alu 0xfffd
	v_cndmask_b32_e32 v5, v12, v5, vcc_lo
	v_cmp_eq_u32_e32 vcc_lo, 0x40f, v13
	s_delay_alu instid0(VALU_DEP_2) | instskip(SKIP_3) | instid1(VALU_DEP_2)
	v_and_or_b32 v8, 0x8000, v8, v5
	s_wait_alu 0xfffd
	v_cndmask_b32_e32 v7, v7, v9, vcc_lo
	v_mad_co_u64_u32 v[4:5], null, 0x70, s5, v[4:5]
	v_and_or_b32 v5, 0x8000, v10, v7
	v_and_b32_e32 v7, 0xffff, v8
	s_delay_alu instid0(VALU_DEP_1)
	v_lshl_or_b32 v5, v5, 16, v7
	v_lshrrev_b32_e32 v7, 16, v6
	global_store_b32 v[3:4], v5, off
	global_load_b32 v5, v24, s[12:13] offset:560
	s_wait_loadcnt 0x0
	v_lshrrev_b32_e32 v8, 16, v5
	s_delay_alu instid0(VALU_DEP_1) | instskip(SKIP_1) | instid1(VALU_DEP_2)
	v_mul_f16_e32 v9, v7, v8
	v_mul_f16_e32 v8, v6, v8
	v_fmac_f16_e32 v9, v6, v5
	s_delay_alu instid0(VALU_DEP_2) | instskip(NEXT) | instid1(VALU_DEP_2)
	v_fma_f16 v5, v5, v7, -v8
	v_cvt_f32_f16_e32 v6, v9
	s_delay_alu instid0(VALU_DEP_2) | instskip(NEXT) | instid1(VALU_DEP_2)
	v_cvt_f32_f16_e32 v7, v5
	v_cvt_f64_f32_e32 v[5:6], v6
	s_delay_alu instid0(VALU_DEP_2) | instskip(NEXT) | instid1(VALU_DEP_2)
	v_cvt_f64_f32_e32 v[7:8], v7
	v_mul_f64_e32 v[5:6], s[8:9], v[5:6]
	s_delay_alu instid0(VALU_DEP_2) | instskip(NEXT) | instid1(VALU_DEP_2)
	v_mul_f64_e32 v[7:8], s[8:9], v[7:8]
	v_and_or_b32 v5, 0x1ff, v6, v5
	s_delay_alu instid0(VALU_DEP_2)
	v_and_or_b32 v7, 0x1ff, v8, v7
	v_lshrrev_b32_e32 v9, 8, v6
	v_bfe_u32 v10, v6, 20, 11
	v_lshrrev_b32_e32 v11, 8, v8
	v_cmp_ne_u32_e32 vcc_lo, 0, v5
	v_bfe_u32 v12, v8, 20, 11
	v_lshrrev_b32_e32 v6, 16, v6
	v_sub_nc_u32_e32 v13, 0x3f1, v10
	v_add_nc_u32_e32 v10, 0xfffffc10, v10
	s_wait_alu 0xfffd
	v_cndmask_b32_e64 v5, 0, 1, vcc_lo
	v_cmp_ne_u32_e32 vcc_lo, 0, v7
	v_lshrrev_b32_e32 v8, 16, v8
	s_delay_alu instid0(VALU_DEP_3) | instskip(SKIP_4) | instid1(VALU_DEP_3)
	v_and_or_b32 v5, 0xffe, v9, v5
	s_wait_alu 0xfffd
	v_cndmask_b32_e64 v7, 0, 1, vcc_lo
	v_sub_nc_u32_e32 v9, 0x3f1, v12
	v_add_nc_u32_e32 v12, 0xfffffc10, v12
	v_and_or_b32 v7, 0xffe, v11, v7
	v_med3_i32 v11, v13, 0, 13
	v_or_b32_e32 v13, 0x1000, v5
	v_med3_i32 v9, v9, 0, 13
	s_delay_alu instid0(VALU_DEP_4) | instskip(NEXT) | instid1(VALU_DEP_3)
	v_or_b32_e32 v14, 0x1000, v7
	v_lshrrev_b32_e32 v15, v11, v13
	s_delay_alu instid0(VALU_DEP_2) | instskip(NEXT) | instid1(VALU_DEP_2)
	v_lshrrev_b32_e32 v16, v9, v14
	v_lshlrev_b32_e32 v11, v11, v15
	s_delay_alu instid0(VALU_DEP_2) | instskip(NEXT) | instid1(VALU_DEP_2)
	v_lshlrev_b32_e32 v9, v9, v16
	v_cmp_ne_u32_e32 vcc_lo, v11, v13
	v_lshl_or_b32 v13, v10, 12, v5
	s_wait_alu 0xfffd
	v_cndmask_b32_e64 v11, 0, 1, vcc_lo
	v_cmp_ne_u32_e32 vcc_lo, v9, v14
	v_lshl_or_b32 v14, v12, 12, v7
	s_delay_alu instid0(VALU_DEP_3) | instskip(SKIP_3) | instid1(VALU_DEP_2)
	v_or_b32_e32 v11, v15, v11
	s_wait_alu 0xfffd
	v_cndmask_b32_e64 v9, 0, 1, vcc_lo
	v_cmp_gt_i32_e32 vcc_lo, 1, v10
	v_or_b32_e32 v9, v16, v9
	s_wait_alu 0xfffd
	v_cndmask_b32_e32 v11, v13, v11, vcc_lo
	v_cmp_gt_i32_e32 vcc_lo, 1, v12
	s_delay_alu instid0(VALU_DEP_2)
	v_and_b32_e32 v13, 7, v11
	s_wait_alu 0xfffd
	v_cndmask_b32_e32 v9, v14, v9, vcc_lo
	v_cmp_ne_u32_e32 vcc_lo, 0, v5
	v_lshrrev_b32_e32 v11, 2, v11
	v_cmp_eq_u32_e64 s0, 3, v13
	s_delay_alu instid0(VALU_DEP_4)
	v_and_b32_e32 v14, 7, v9
	s_wait_alu 0xfffd
	v_cndmask_b32_e64 v5, 0, 1, vcc_lo
	v_cmp_ne_u32_e32 vcc_lo, 0, v7
	v_lshrrev_b32_e32 v9, 2, v9
	v_cmp_lt_i32_e64 s1, 5, v14
	v_cmp_eq_u32_e64 s2, 3, v14
	s_wait_alu 0xfffd
	v_cndmask_b32_e64 v7, 0, 1, vcc_lo
	v_cmp_lt_i32_e32 vcc_lo, 5, v13
	v_lshl_or_b32 v5, v5, 9, 0x7c00
	s_delay_alu instid0(VALU_DEP_3)
	v_lshl_or_b32 v7, v7, 9, 0x7c00
	s_or_b32 vcc_lo, s0, vcc_lo
	s_wait_alu 0xfffe
	v_add_co_ci_u32_e32 v11, vcc_lo, 0, v11, vcc_lo
	s_or_b32 vcc_lo, s2, s1
	s_wait_alu 0xfffe
	v_add_co_ci_u32_e32 v9, vcc_lo, 0, v9, vcc_lo
	v_cmp_gt_i32_e32 vcc_lo, 31, v10
	s_wait_alu 0xfffd
	v_cndmask_b32_e32 v11, 0x7c00, v11, vcc_lo
	v_cmp_gt_i32_e32 vcc_lo, 31, v12
	s_wait_alu 0xfffd
	v_cndmask_b32_e32 v9, 0x7c00, v9, vcc_lo
	v_cmp_eq_u32_e32 vcc_lo, 0x40f, v10
	s_wait_alu 0xfffd
	v_cndmask_b32_e32 v5, v11, v5, vcc_lo
	v_cmp_eq_u32_e32 vcc_lo, 0x40f, v12
	s_delay_alu instid0(VALU_DEP_2)
	v_and_or_b32 v5, 0x8000, v6, v5
	s_wait_alu 0xfffd
	v_cndmask_b32_e32 v7, v9, v7, vcc_lo
	v_add_co_u32 v3, vcc_lo, v3, s6
	s_wait_alu 0xfffd
	v_add_co_ci_u32_e32 v4, vcc_lo, s7, v4, vcc_lo
	s_delay_alu instid0(VALU_DEP_3) | instskip(SKIP_1) | instid1(VALU_DEP_1)
	v_and_or_b32 v6, 0x8000, v8, v7
	v_and_b32_e32 v5, 0xffff, v5
	v_lshl_or_b32 v5, v6, 16, v5
	global_store_b32 v[3:4], v5, off
	global_load_b32 v7, v24, s[12:13] offset:616
	ds_load_2addr_b32 v[5:6], v2 offset0:154 offset1:168
	s_wait_dscnt 0x0
	v_lshrrev_b32_e32 v8, 16, v5
	s_wait_loadcnt 0x0
	v_lshrrev_b32_e32 v9, 16, v7
	s_delay_alu instid0(VALU_DEP_1) | instskip(SKIP_1) | instid1(VALU_DEP_2)
	v_mul_f16_e32 v10, v8, v9
	v_mul_f16_e32 v9, v5, v9
	v_fmac_f16_e32 v10, v5, v7
	s_delay_alu instid0(VALU_DEP_2) | instskip(NEXT) | instid1(VALU_DEP_2)
	v_fma_f16 v5, v7, v8, -v9
	v_cvt_f32_f16_e32 v7, v10
	s_delay_alu instid0(VALU_DEP_2) | instskip(NEXT) | instid1(VALU_DEP_2)
	v_cvt_f32_f16_e32 v5, v5
	v_cvt_f64_f32_e32 v[7:8], v7
	s_delay_alu instid0(VALU_DEP_2) | instskip(NEXT) | instid1(VALU_DEP_2)
	v_cvt_f64_f32_e32 v[9:10], v5
	v_mul_f64_e32 v[7:8], s[8:9], v[7:8]
	s_delay_alu instid0(VALU_DEP_2) | instskip(NEXT) | instid1(VALU_DEP_2)
	v_mul_f64_e32 v[9:10], s[8:9], v[9:10]
	v_and_or_b32 v5, 0x1ff, v8, v7
	s_delay_alu instid0(VALU_DEP_2)
	v_and_or_b32 v9, 0x1ff, v10, v9
	v_lshrrev_b32_e32 v7, 8, v8
	v_bfe_u32 v11, v8, 20, 11
	v_lshrrev_b32_e32 v12, 8, v10
	v_cmp_ne_u32_e32 vcc_lo, 0, v5
	v_bfe_u32 v13, v10, 20, 11
	v_lshrrev_b32_e32 v8, 16, v8
	v_sub_nc_u32_e32 v14, 0x3f1, v11
	v_add_nc_u32_e32 v11, 0xfffffc10, v11
	s_wait_alu 0xfffd
	v_cndmask_b32_e64 v5, 0, 1, vcc_lo
	v_cmp_ne_u32_e32 vcc_lo, 0, v9
	v_lshrrev_b32_e32 v10, 16, v10
	s_delay_alu instid0(VALU_DEP_3) | instskip(SKIP_4) | instid1(VALU_DEP_3)
	v_and_or_b32 v5, 0xffe, v7, v5
	s_wait_alu 0xfffd
	v_cndmask_b32_e64 v9, 0, 1, vcc_lo
	v_sub_nc_u32_e32 v7, 0x3f1, v13
	v_add_nc_u32_e32 v13, 0xfffffc10, v13
	v_and_or_b32 v9, 0xffe, v12, v9
	v_med3_i32 v12, v14, 0, 13
	v_or_b32_e32 v14, 0x1000, v5
	v_med3_i32 v7, v7, 0, 13
	s_delay_alu instid0(VALU_DEP_4) | instskip(NEXT) | instid1(VALU_DEP_3)
	v_or_b32_e32 v15, 0x1000, v9
	v_lshrrev_b32_e32 v16, v12, v14
	s_delay_alu instid0(VALU_DEP_2) | instskip(NEXT) | instid1(VALU_DEP_2)
	v_lshrrev_b32_e32 v17, v7, v15
	v_lshlrev_b32_e32 v12, v12, v16
	s_delay_alu instid0(VALU_DEP_2) | instskip(NEXT) | instid1(VALU_DEP_2)
	v_lshlrev_b32_e32 v7, v7, v17
	v_cmp_ne_u32_e32 vcc_lo, v12, v14
	v_lshl_or_b32 v14, v11, 12, v5
	s_wait_alu 0xfffd
	v_cndmask_b32_e64 v12, 0, 1, vcc_lo
	v_cmp_ne_u32_e32 vcc_lo, v7, v15
	v_lshl_or_b32 v15, v13, 12, v9
	s_delay_alu instid0(VALU_DEP_3) | instskip(SKIP_3) | instid1(VALU_DEP_2)
	v_or_b32_e32 v12, v16, v12
	s_wait_alu 0xfffd
	v_cndmask_b32_e64 v7, 0, 1, vcc_lo
	v_cmp_gt_i32_e32 vcc_lo, 1, v11
	v_or_b32_e32 v7, v17, v7
	s_wait_alu 0xfffd
	v_cndmask_b32_e32 v12, v14, v12, vcc_lo
	v_cmp_gt_i32_e32 vcc_lo, 1, v13
	s_wait_alu 0xfffd
	s_delay_alu instid0(VALU_DEP_2) | instskip(SKIP_2) | instid1(VALU_DEP_3)
	v_dual_cndmask_b32 v7, v15, v7 :: v_dual_and_b32 v14, 7, v12
	v_cmp_ne_u32_e32 vcc_lo, 0, v5
	v_lshrrev_b32_e32 v12, 2, v12
	v_cmp_eq_u32_e64 s0, 3, v14
	s_delay_alu instid0(VALU_DEP_4)
	v_and_b32_e32 v15, 7, v7
	s_wait_alu 0xfffd
	v_cndmask_b32_e64 v5, 0, 1, vcc_lo
	v_cmp_ne_u32_e32 vcc_lo, 0, v9
	v_lshrrev_b32_e32 v7, 2, v7
	v_cmp_lt_i32_e64 s1, 5, v15
	v_cmp_eq_u32_e64 s2, 3, v15
	s_wait_alu 0xfffd
	v_cndmask_b32_e64 v9, 0, 1, vcc_lo
	v_cmp_lt_i32_e32 vcc_lo, 5, v14
	v_lshl_or_b32 v5, v5, 9, 0x7c00
	s_delay_alu instid0(VALU_DEP_3)
	v_lshl_or_b32 v9, v9, 9, 0x7c00
	s_or_b32 vcc_lo, s0, vcc_lo
	s_wait_alu 0xfffe
	v_add_co_ci_u32_e32 v12, vcc_lo, 0, v12, vcc_lo
	s_or_b32 vcc_lo, s2, s1
	s_wait_alu 0xfffe
	v_add_co_ci_u32_e32 v7, vcc_lo, 0, v7, vcc_lo
	v_cmp_gt_i32_e32 vcc_lo, 31, v11
	s_wait_alu 0xfffd
	v_cndmask_b32_e32 v12, 0x7c00, v12, vcc_lo
	v_cmp_gt_i32_e32 vcc_lo, 31, v13
	s_wait_alu 0xfffd
	v_cndmask_b32_e32 v7, 0x7c00, v7, vcc_lo
	v_cmp_eq_u32_e32 vcc_lo, 0x40f, v11
	s_wait_alu 0xfffd
	v_cndmask_b32_e32 v5, v12, v5, vcc_lo
	v_cmp_eq_u32_e32 vcc_lo, 0x40f, v13
	s_delay_alu instid0(VALU_DEP_2)
	v_and_or_b32 v5, 0x8000, v8, v5
	s_wait_alu 0xfffd
	v_cndmask_b32_e32 v7, v7, v9, vcc_lo
	v_add_co_u32 v3, vcc_lo, v3, s6
	s_wait_alu 0xfffd
	v_add_co_ci_u32_e32 v4, vcc_lo, s7, v4, vcc_lo
	s_delay_alu instid0(VALU_DEP_3) | instskip(SKIP_1) | instid1(VALU_DEP_1)
	v_and_or_b32 v7, 0x8000, v10, v7
	v_and_b32_e32 v5, 0xffff, v5
	v_lshl_or_b32 v5, v7, 16, v5
	v_lshrrev_b32_e32 v7, 16, v6
	global_store_b32 v[3:4], v5, off
	global_load_b32 v5, v24, s[12:13] offset:672
	s_wait_loadcnt 0x0
	v_lshrrev_b32_e32 v8, 16, v5
	s_delay_alu instid0(VALU_DEP_1) | instskip(SKIP_1) | instid1(VALU_DEP_2)
	v_mul_f16_e32 v9, v7, v8
	v_mul_f16_e32 v8, v6, v8
	v_fmac_f16_e32 v9, v6, v5
	s_delay_alu instid0(VALU_DEP_2) | instskip(NEXT) | instid1(VALU_DEP_2)
	v_fma_f16 v5, v5, v7, -v8
	v_cvt_f32_f16_e32 v6, v9
	s_delay_alu instid0(VALU_DEP_2) | instskip(NEXT) | instid1(VALU_DEP_2)
	v_cvt_f32_f16_e32 v7, v5
	v_cvt_f64_f32_e32 v[5:6], v6
	s_delay_alu instid0(VALU_DEP_2) | instskip(NEXT) | instid1(VALU_DEP_2)
	v_cvt_f64_f32_e32 v[7:8], v7
	v_mul_f64_e32 v[5:6], s[8:9], v[5:6]
	s_delay_alu instid0(VALU_DEP_2) | instskip(NEXT) | instid1(VALU_DEP_2)
	v_mul_f64_e32 v[7:8], s[8:9], v[7:8]
	v_and_or_b32 v5, 0x1ff, v6, v5
	s_delay_alu instid0(VALU_DEP_2)
	v_and_or_b32 v7, 0x1ff, v8, v7
	v_lshrrev_b32_e32 v9, 8, v6
	v_bfe_u32 v10, v6, 20, 11
	v_lshrrev_b32_e32 v11, 8, v8
	v_cmp_ne_u32_e32 vcc_lo, 0, v5
	v_bfe_u32 v12, v8, 20, 11
	v_lshrrev_b32_e32 v6, 16, v6
	v_sub_nc_u32_e32 v13, 0x3f1, v10
	v_add_nc_u32_e32 v10, 0xfffffc10, v10
	s_wait_alu 0xfffd
	v_cndmask_b32_e64 v5, 0, 1, vcc_lo
	v_cmp_ne_u32_e32 vcc_lo, 0, v7
	v_lshrrev_b32_e32 v8, 16, v8
	s_delay_alu instid0(VALU_DEP_3) | instskip(SKIP_4) | instid1(VALU_DEP_3)
	v_and_or_b32 v5, 0xffe, v9, v5
	s_wait_alu 0xfffd
	v_cndmask_b32_e64 v7, 0, 1, vcc_lo
	v_sub_nc_u32_e32 v9, 0x3f1, v12
	v_add_nc_u32_e32 v12, 0xfffffc10, v12
	v_and_or_b32 v7, 0xffe, v11, v7
	v_med3_i32 v11, v13, 0, 13
	v_or_b32_e32 v13, 0x1000, v5
	v_med3_i32 v9, v9, 0, 13
	s_delay_alu instid0(VALU_DEP_4) | instskip(NEXT) | instid1(VALU_DEP_3)
	v_or_b32_e32 v14, 0x1000, v7
	v_lshrrev_b32_e32 v15, v11, v13
	s_delay_alu instid0(VALU_DEP_2) | instskip(NEXT) | instid1(VALU_DEP_2)
	v_lshrrev_b32_e32 v16, v9, v14
	v_lshlrev_b32_e32 v11, v11, v15
	s_delay_alu instid0(VALU_DEP_2) | instskip(NEXT) | instid1(VALU_DEP_2)
	v_lshlrev_b32_e32 v9, v9, v16
	v_cmp_ne_u32_e32 vcc_lo, v11, v13
	v_lshl_or_b32 v13, v10, 12, v5
	s_wait_alu 0xfffd
	v_cndmask_b32_e64 v11, 0, 1, vcc_lo
	v_cmp_ne_u32_e32 vcc_lo, v9, v14
	v_lshl_or_b32 v14, v12, 12, v7
	s_delay_alu instid0(VALU_DEP_3) | instskip(SKIP_3) | instid1(VALU_DEP_2)
	v_or_b32_e32 v11, v15, v11
	s_wait_alu 0xfffd
	v_cndmask_b32_e64 v9, 0, 1, vcc_lo
	v_cmp_gt_i32_e32 vcc_lo, 1, v10
	v_or_b32_e32 v9, v16, v9
	s_wait_alu 0xfffd
	v_cndmask_b32_e32 v11, v13, v11, vcc_lo
	v_cmp_gt_i32_e32 vcc_lo, 1, v12
	s_delay_alu instid0(VALU_DEP_2)
	v_and_b32_e32 v13, 7, v11
	s_wait_alu 0xfffd
	v_cndmask_b32_e32 v9, v14, v9, vcc_lo
	v_cmp_ne_u32_e32 vcc_lo, 0, v5
	v_lshrrev_b32_e32 v11, 2, v11
	v_cmp_eq_u32_e64 s0, 3, v13
	s_delay_alu instid0(VALU_DEP_4)
	v_and_b32_e32 v14, 7, v9
	s_wait_alu 0xfffd
	v_cndmask_b32_e64 v5, 0, 1, vcc_lo
	v_cmp_ne_u32_e32 vcc_lo, 0, v7
	v_lshrrev_b32_e32 v9, 2, v9
	v_cmp_lt_i32_e64 s1, 5, v14
	v_cmp_eq_u32_e64 s2, 3, v14
	s_wait_alu 0xfffd
	v_cndmask_b32_e64 v7, 0, 1, vcc_lo
	v_cmp_lt_i32_e32 vcc_lo, 5, v13
	v_lshl_or_b32 v5, v5, 9, 0x7c00
	s_delay_alu instid0(VALU_DEP_3)
	v_lshl_or_b32 v7, v7, 9, 0x7c00
	s_or_b32 vcc_lo, s0, vcc_lo
	s_wait_alu 0xfffe
	v_add_co_ci_u32_e32 v11, vcc_lo, 0, v11, vcc_lo
	s_or_b32 vcc_lo, s2, s1
	s_wait_alu 0xfffe
	v_add_co_ci_u32_e32 v9, vcc_lo, 0, v9, vcc_lo
	v_cmp_gt_i32_e32 vcc_lo, 31, v10
	s_wait_alu 0xfffd
	v_cndmask_b32_e32 v11, 0x7c00, v11, vcc_lo
	v_cmp_gt_i32_e32 vcc_lo, 31, v12
	s_wait_alu 0xfffd
	v_cndmask_b32_e32 v9, 0x7c00, v9, vcc_lo
	v_cmp_eq_u32_e32 vcc_lo, 0x40f, v10
	s_wait_alu 0xfffd
	v_cndmask_b32_e32 v5, v11, v5, vcc_lo
	v_cmp_eq_u32_e32 vcc_lo, 0x40f, v12
	s_delay_alu instid0(VALU_DEP_2)
	v_and_or_b32 v5, 0x8000, v6, v5
	s_wait_alu 0xfffd
	v_cndmask_b32_e32 v7, v9, v7, vcc_lo
	v_add_co_u32 v3, vcc_lo, v3, s6
	s_wait_alu 0xfffd
	v_add_co_ci_u32_e32 v4, vcc_lo, s7, v4, vcc_lo
	s_delay_alu instid0(VALU_DEP_3) | instskip(SKIP_1) | instid1(VALU_DEP_1)
	v_and_or_b32 v6, 0x8000, v8, v7
	v_and_b32_e32 v5, 0xffff, v5
	v_lshl_or_b32 v5, v6, 16, v5
	global_store_b32 v[3:4], v5, off
	global_load_b32 v7, v24, s[12:13] offset:728
	ds_load_2addr_b32 v[5:6], v2 offset0:182 offset1:196
	s_wait_dscnt 0x0
	v_lshrrev_b32_e32 v8, 16, v5
	s_wait_loadcnt 0x0
	v_lshrrev_b32_e32 v9, 16, v7
	s_delay_alu instid0(VALU_DEP_1) | instskip(SKIP_1) | instid1(VALU_DEP_2)
	v_mul_f16_e32 v10, v8, v9
	v_mul_f16_e32 v9, v5, v9
	v_fmac_f16_e32 v10, v5, v7
	s_delay_alu instid0(VALU_DEP_2) | instskip(NEXT) | instid1(VALU_DEP_2)
	v_fma_f16 v5, v7, v8, -v9
	v_cvt_f32_f16_e32 v7, v10
	s_delay_alu instid0(VALU_DEP_2) | instskip(NEXT) | instid1(VALU_DEP_2)
	v_cvt_f32_f16_e32 v5, v5
	v_cvt_f64_f32_e32 v[7:8], v7
	s_delay_alu instid0(VALU_DEP_2) | instskip(NEXT) | instid1(VALU_DEP_2)
	v_cvt_f64_f32_e32 v[9:10], v5
	v_mul_f64_e32 v[7:8], s[8:9], v[7:8]
	s_delay_alu instid0(VALU_DEP_2) | instskip(NEXT) | instid1(VALU_DEP_2)
	v_mul_f64_e32 v[9:10], s[8:9], v[9:10]
	v_and_or_b32 v5, 0x1ff, v8, v7
	s_delay_alu instid0(VALU_DEP_2)
	v_and_or_b32 v9, 0x1ff, v10, v9
	v_lshrrev_b32_e32 v7, 8, v8
	v_bfe_u32 v11, v8, 20, 11
	v_lshrrev_b32_e32 v12, 8, v10
	v_cmp_ne_u32_e32 vcc_lo, 0, v5
	v_bfe_u32 v13, v10, 20, 11
	v_lshrrev_b32_e32 v8, 16, v8
	v_sub_nc_u32_e32 v14, 0x3f1, v11
	v_add_nc_u32_e32 v11, 0xfffffc10, v11
	s_wait_alu 0xfffd
	v_cndmask_b32_e64 v5, 0, 1, vcc_lo
	v_cmp_ne_u32_e32 vcc_lo, 0, v9
	v_lshrrev_b32_e32 v10, 16, v10
	s_delay_alu instid0(VALU_DEP_3) | instskip(SKIP_4) | instid1(VALU_DEP_3)
	v_and_or_b32 v5, 0xffe, v7, v5
	s_wait_alu 0xfffd
	v_cndmask_b32_e64 v9, 0, 1, vcc_lo
	v_sub_nc_u32_e32 v7, 0x3f1, v13
	v_add_nc_u32_e32 v13, 0xfffffc10, v13
	v_and_or_b32 v9, 0xffe, v12, v9
	v_med3_i32 v12, v14, 0, 13
	v_or_b32_e32 v14, 0x1000, v5
	v_med3_i32 v7, v7, 0, 13
	s_delay_alu instid0(VALU_DEP_4) | instskip(NEXT) | instid1(VALU_DEP_3)
	v_or_b32_e32 v15, 0x1000, v9
	v_lshrrev_b32_e32 v16, v12, v14
	s_delay_alu instid0(VALU_DEP_2) | instskip(NEXT) | instid1(VALU_DEP_2)
	v_lshrrev_b32_e32 v17, v7, v15
	v_lshlrev_b32_e32 v12, v12, v16
	s_delay_alu instid0(VALU_DEP_2) | instskip(NEXT) | instid1(VALU_DEP_2)
	v_lshlrev_b32_e32 v7, v7, v17
	v_cmp_ne_u32_e32 vcc_lo, v12, v14
	v_lshl_or_b32 v14, v11, 12, v5
	s_wait_alu 0xfffd
	v_cndmask_b32_e64 v12, 0, 1, vcc_lo
	v_cmp_ne_u32_e32 vcc_lo, v7, v15
	v_lshl_or_b32 v15, v13, 12, v9
	s_delay_alu instid0(VALU_DEP_3) | instskip(SKIP_3) | instid1(VALU_DEP_2)
	v_or_b32_e32 v12, v16, v12
	s_wait_alu 0xfffd
	v_cndmask_b32_e64 v7, 0, 1, vcc_lo
	v_cmp_gt_i32_e32 vcc_lo, 1, v11
	v_or_b32_e32 v7, v17, v7
	s_wait_alu 0xfffd
	v_cndmask_b32_e32 v12, v14, v12, vcc_lo
	v_cmp_gt_i32_e32 vcc_lo, 1, v13
	s_wait_alu 0xfffd
	s_delay_alu instid0(VALU_DEP_2) | instskip(SKIP_2) | instid1(VALU_DEP_3)
	v_dual_cndmask_b32 v7, v15, v7 :: v_dual_and_b32 v14, 7, v12
	v_cmp_ne_u32_e32 vcc_lo, 0, v5
	v_lshrrev_b32_e32 v12, 2, v12
	v_cmp_eq_u32_e64 s0, 3, v14
	s_delay_alu instid0(VALU_DEP_4)
	v_and_b32_e32 v15, 7, v7
	s_wait_alu 0xfffd
	v_cndmask_b32_e64 v5, 0, 1, vcc_lo
	v_cmp_ne_u32_e32 vcc_lo, 0, v9
	v_lshrrev_b32_e32 v7, 2, v7
	v_cmp_lt_i32_e64 s1, 5, v15
	v_cmp_eq_u32_e64 s2, 3, v15
	s_wait_alu 0xfffd
	v_cndmask_b32_e64 v9, 0, 1, vcc_lo
	v_cmp_lt_i32_e32 vcc_lo, 5, v14
	v_lshl_or_b32 v5, v5, 9, 0x7c00
	s_delay_alu instid0(VALU_DEP_3)
	v_lshl_or_b32 v9, v9, 9, 0x7c00
	s_or_b32 vcc_lo, s0, vcc_lo
	s_wait_alu 0xfffe
	v_add_co_ci_u32_e32 v12, vcc_lo, 0, v12, vcc_lo
	s_or_b32 vcc_lo, s2, s1
	s_wait_alu 0xfffe
	v_add_co_ci_u32_e32 v7, vcc_lo, 0, v7, vcc_lo
	v_cmp_gt_i32_e32 vcc_lo, 31, v11
	s_wait_alu 0xfffd
	v_cndmask_b32_e32 v12, 0x7c00, v12, vcc_lo
	v_cmp_gt_i32_e32 vcc_lo, 31, v13
	s_wait_alu 0xfffd
	v_cndmask_b32_e32 v7, 0x7c00, v7, vcc_lo
	v_cmp_eq_u32_e32 vcc_lo, 0x40f, v11
	s_wait_alu 0xfffd
	v_cndmask_b32_e32 v5, v12, v5, vcc_lo
	v_cmp_eq_u32_e32 vcc_lo, 0x40f, v13
	s_delay_alu instid0(VALU_DEP_2)
	v_and_or_b32 v5, 0x8000, v8, v5
	s_wait_alu 0xfffd
	v_cndmask_b32_e32 v7, v7, v9, vcc_lo
	v_add_co_u32 v3, vcc_lo, v3, s6
	s_wait_alu 0xfffd
	v_add_co_ci_u32_e32 v4, vcc_lo, s7, v4, vcc_lo
	s_delay_alu instid0(VALU_DEP_3) | instskip(SKIP_1) | instid1(VALU_DEP_1)
	v_and_or_b32 v7, 0x8000, v10, v7
	v_and_b32_e32 v5, 0xffff, v5
	v_lshl_or_b32 v5, v7, 16, v5
	v_lshrrev_b32_e32 v7, 16, v6
	global_store_b32 v[3:4], v5, off
	global_load_b32 v5, v24, s[12:13] offset:784
	s_wait_loadcnt 0x0
	v_lshrrev_b32_e32 v8, 16, v5
	s_delay_alu instid0(VALU_DEP_1) | instskip(SKIP_1) | instid1(VALU_DEP_2)
	v_mul_f16_e32 v9, v7, v8
	v_mul_f16_e32 v8, v6, v8
	v_fmac_f16_e32 v9, v6, v5
	s_delay_alu instid0(VALU_DEP_2) | instskip(NEXT) | instid1(VALU_DEP_2)
	v_fma_f16 v5, v5, v7, -v8
	v_cvt_f32_f16_e32 v6, v9
	s_delay_alu instid0(VALU_DEP_2) | instskip(NEXT) | instid1(VALU_DEP_2)
	v_cvt_f32_f16_e32 v7, v5
	v_cvt_f64_f32_e32 v[5:6], v6
	s_delay_alu instid0(VALU_DEP_2) | instskip(NEXT) | instid1(VALU_DEP_2)
	v_cvt_f64_f32_e32 v[7:8], v7
	v_mul_f64_e32 v[5:6], s[8:9], v[5:6]
	s_delay_alu instid0(VALU_DEP_2) | instskip(NEXT) | instid1(VALU_DEP_2)
	v_mul_f64_e32 v[7:8], s[8:9], v[7:8]
	v_and_or_b32 v5, 0x1ff, v6, v5
	s_delay_alu instid0(VALU_DEP_2)
	v_and_or_b32 v7, 0x1ff, v8, v7
	v_lshrrev_b32_e32 v9, 8, v6
	v_bfe_u32 v10, v6, 20, 11
	v_lshrrev_b32_e32 v11, 8, v8
	v_cmp_ne_u32_e32 vcc_lo, 0, v5
	v_bfe_u32 v12, v8, 20, 11
	v_lshrrev_b32_e32 v6, 16, v6
	v_sub_nc_u32_e32 v13, 0x3f1, v10
	v_add_nc_u32_e32 v10, 0xfffffc10, v10
	s_wait_alu 0xfffd
	v_cndmask_b32_e64 v5, 0, 1, vcc_lo
	v_cmp_ne_u32_e32 vcc_lo, 0, v7
	v_lshrrev_b32_e32 v8, 16, v8
	s_delay_alu instid0(VALU_DEP_3) | instskip(SKIP_4) | instid1(VALU_DEP_3)
	v_and_or_b32 v5, 0xffe, v9, v5
	s_wait_alu 0xfffd
	v_cndmask_b32_e64 v7, 0, 1, vcc_lo
	v_sub_nc_u32_e32 v9, 0x3f1, v12
	v_add_nc_u32_e32 v12, 0xfffffc10, v12
	v_and_or_b32 v7, 0xffe, v11, v7
	v_med3_i32 v11, v13, 0, 13
	v_or_b32_e32 v13, 0x1000, v5
	v_med3_i32 v9, v9, 0, 13
	s_delay_alu instid0(VALU_DEP_4) | instskip(NEXT) | instid1(VALU_DEP_3)
	v_or_b32_e32 v14, 0x1000, v7
	v_lshrrev_b32_e32 v15, v11, v13
	s_delay_alu instid0(VALU_DEP_2) | instskip(NEXT) | instid1(VALU_DEP_2)
	v_lshrrev_b32_e32 v16, v9, v14
	v_lshlrev_b32_e32 v11, v11, v15
	s_delay_alu instid0(VALU_DEP_2) | instskip(NEXT) | instid1(VALU_DEP_2)
	v_lshlrev_b32_e32 v9, v9, v16
	v_cmp_ne_u32_e32 vcc_lo, v11, v13
	v_lshl_or_b32 v13, v10, 12, v5
	s_wait_alu 0xfffd
	v_cndmask_b32_e64 v11, 0, 1, vcc_lo
	v_cmp_ne_u32_e32 vcc_lo, v9, v14
	v_lshl_or_b32 v14, v12, 12, v7
	s_delay_alu instid0(VALU_DEP_3) | instskip(SKIP_3) | instid1(VALU_DEP_2)
	v_or_b32_e32 v11, v15, v11
	s_wait_alu 0xfffd
	v_cndmask_b32_e64 v9, 0, 1, vcc_lo
	v_cmp_gt_i32_e32 vcc_lo, 1, v10
	v_or_b32_e32 v9, v16, v9
	s_wait_alu 0xfffd
	v_cndmask_b32_e32 v11, v13, v11, vcc_lo
	v_cmp_gt_i32_e32 vcc_lo, 1, v12
	s_delay_alu instid0(VALU_DEP_2)
	v_and_b32_e32 v13, 7, v11
	s_wait_alu 0xfffd
	v_cndmask_b32_e32 v9, v14, v9, vcc_lo
	v_cmp_ne_u32_e32 vcc_lo, 0, v5
	v_lshrrev_b32_e32 v11, 2, v11
	v_cmp_eq_u32_e64 s0, 3, v13
	s_delay_alu instid0(VALU_DEP_4)
	v_and_b32_e32 v14, 7, v9
	s_wait_alu 0xfffd
	v_cndmask_b32_e64 v5, 0, 1, vcc_lo
	v_cmp_ne_u32_e32 vcc_lo, 0, v7
	v_lshrrev_b32_e32 v9, 2, v9
	v_cmp_lt_i32_e64 s1, 5, v14
	v_cmp_eq_u32_e64 s2, 3, v14
	s_wait_alu 0xfffd
	v_cndmask_b32_e64 v7, 0, 1, vcc_lo
	v_cmp_lt_i32_e32 vcc_lo, 5, v13
	v_lshl_or_b32 v5, v5, 9, 0x7c00
	s_delay_alu instid0(VALU_DEP_3)
	v_lshl_or_b32 v7, v7, 9, 0x7c00
	s_or_b32 vcc_lo, s0, vcc_lo
	s_wait_alu 0xfffe
	v_add_co_ci_u32_e32 v11, vcc_lo, 0, v11, vcc_lo
	s_or_b32 vcc_lo, s2, s1
	s_wait_alu 0xfffe
	v_add_co_ci_u32_e32 v9, vcc_lo, 0, v9, vcc_lo
	v_cmp_gt_i32_e32 vcc_lo, 31, v10
	s_wait_alu 0xfffd
	v_cndmask_b32_e32 v11, 0x7c00, v11, vcc_lo
	v_cmp_gt_i32_e32 vcc_lo, 31, v12
	s_wait_alu 0xfffd
	v_cndmask_b32_e32 v9, 0x7c00, v9, vcc_lo
	v_cmp_eq_u32_e32 vcc_lo, 0x40f, v10
	s_wait_alu 0xfffd
	v_cndmask_b32_e32 v5, v11, v5, vcc_lo
	v_cmp_eq_u32_e32 vcc_lo, 0x40f, v12
	s_delay_alu instid0(VALU_DEP_2)
	v_and_or_b32 v5, 0x8000, v6, v5
	s_wait_alu 0xfffd
	v_cndmask_b32_e32 v7, v9, v7, vcc_lo
	v_add_co_u32 v3, vcc_lo, v3, s6
	s_wait_alu 0xfffd
	v_add_co_ci_u32_e32 v4, vcc_lo, s7, v4, vcc_lo
	s_delay_alu instid0(VALU_DEP_3) | instskip(SKIP_1) | instid1(VALU_DEP_1)
	v_and_or_b32 v6, 0x8000, v8, v7
	v_and_b32_e32 v5, 0xffff, v5
	v_lshl_or_b32 v5, v6, 16, v5
	global_store_b32 v[3:4], v5, off
	global_load_b32 v7, v24, s[12:13] offset:840
	ds_load_2addr_b32 v[5:6], v2 offset0:210 offset1:224
	s_wait_dscnt 0x0
	v_lshrrev_b32_e32 v2, 16, v5
	s_wait_loadcnt 0x0
	v_lshrrev_b32_e32 v8, 16, v7
	s_delay_alu instid0(VALU_DEP_1) | instskip(SKIP_1) | instid1(VALU_DEP_2)
	v_mul_f16_e32 v9, v2, v8
	v_mul_f16_e32 v8, v5, v8
	v_fmac_f16_e32 v9, v5, v7
	s_delay_alu instid0(VALU_DEP_2) | instskip(NEXT) | instid1(VALU_DEP_2)
	v_fma_f16 v2, v7, v2, -v8
	v_cvt_f32_f16_e32 v5, v9
	s_delay_alu instid0(VALU_DEP_2) | instskip(NEXT) | instid1(VALU_DEP_2)
	v_cvt_f32_f16_e32 v2, v2
	v_cvt_f64_f32_e32 v[7:8], v5
	s_delay_alu instid0(VALU_DEP_2) | instskip(NEXT) | instid1(VALU_DEP_2)
	v_cvt_f64_f32_e32 v[9:10], v2
	v_mul_f64_e32 v[7:8], s[8:9], v[7:8]
	s_delay_alu instid0(VALU_DEP_2) | instskip(NEXT) | instid1(VALU_DEP_2)
	v_mul_f64_e32 v[9:10], s[8:9], v[9:10]
	v_and_or_b32 v2, 0x1ff, v8, v7
	s_delay_alu instid0(VALU_DEP_2)
	v_and_or_b32 v9, 0x1ff, v10, v9
	v_lshrrev_b32_e32 v5, 8, v8
	v_bfe_u32 v7, v8, 20, 11
	v_lshrrev_b32_e32 v11, 8, v10
	v_cmp_ne_u32_e32 vcc_lo, 0, v2
	v_bfe_u32 v12, v10, 20, 11
	v_lshrrev_b32_e32 v8, 16, v8
	v_sub_nc_u32_e32 v13, 0x3f1, v7
	v_add_nc_u32_e32 v7, 0xfffffc10, v7
	s_wait_alu 0xfffd
	v_cndmask_b32_e64 v2, 0, 1, vcc_lo
	v_cmp_ne_u32_e32 vcc_lo, 0, v9
	s_delay_alu instid0(VALU_DEP_2) | instskip(SKIP_4) | instid1(VALU_DEP_3)
	v_and_or_b32 v2, 0xffe, v5, v2
	s_wait_alu 0xfffd
	v_cndmask_b32_e64 v9, 0, 1, vcc_lo
	v_sub_nc_u32_e32 v5, 0x3f1, v12
	v_add_nc_u32_e32 v12, 0xfffffc10, v12
	v_and_or_b32 v9, 0xffe, v11, v9
	v_med3_i32 v11, v13, 0, 13
	v_or_b32_e32 v13, 0x1000, v2
	v_med3_i32 v5, v5, 0, 13
	s_delay_alu instid0(VALU_DEP_4) | instskip(NEXT) | instid1(VALU_DEP_3)
	v_or_b32_e32 v14, 0x1000, v9
	v_lshrrev_b32_e32 v15, v11, v13
	s_delay_alu instid0(VALU_DEP_2) | instskip(NEXT) | instid1(VALU_DEP_2)
	v_lshrrev_b32_e32 v16, v5, v14
	v_lshlrev_b32_e32 v11, v11, v15
	s_delay_alu instid0(VALU_DEP_2) | instskip(NEXT) | instid1(VALU_DEP_2)
	v_lshlrev_b32_e32 v5, v5, v16
	v_cmp_ne_u32_e32 vcc_lo, v11, v13
	v_lshl_or_b32 v13, v7, 12, v2
	s_wait_alu 0xfffd
	v_cndmask_b32_e64 v11, 0, 1, vcc_lo
	v_cmp_ne_u32_e32 vcc_lo, v5, v14
	v_lshl_or_b32 v14, v12, 12, v9
	s_delay_alu instid0(VALU_DEP_3) | instskip(SKIP_3) | instid1(VALU_DEP_2)
	v_or_b32_e32 v11, v15, v11
	s_wait_alu 0xfffd
	v_cndmask_b32_e64 v5, 0, 1, vcc_lo
	v_cmp_gt_i32_e32 vcc_lo, 1, v7
	v_or_b32_e32 v5, v16, v5
	s_wait_alu 0xfffd
	v_cndmask_b32_e32 v11, v13, v11, vcc_lo
	v_cmp_gt_i32_e32 vcc_lo, 1, v12
	s_delay_alu instid0(VALU_DEP_2)
	v_and_b32_e32 v13, 7, v11
	s_wait_alu 0xfffd
	v_cndmask_b32_e32 v5, v14, v5, vcc_lo
	v_cmp_ne_u32_e32 vcc_lo, 0, v2
	v_lshrrev_b32_e32 v11, 2, v11
	v_cmp_eq_u32_e64 s0, 3, v13
	s_delay_alu instid0(VALU_DEP_4)
	v_and_b32_e32 v14, 7, v5
	s_wait_alu 0xfffd
	v_cndmask_b32_e64 v2, 0, 1, vcc_lo
	v_cmp_ne_u32_e32 vcc_lo, 0, v9
	v_lshrrev_b32_e32 v5, 2, v5
	v_cmp_lt_i32_e64 s1, 5, v14
	v_cmp_eq_u32_e64 s2, 3, v14
	s_wait_alu 0xfffd
	v_cndmask_b32_e64 v9, 0, 1, vcc_lo
	v_cmp_lt_i32_e32 vcc_lo, 5, v13
	v_lshl_or_b32 v2, v2, 9, 0x7c00
	s_delay_alu instid0(VALU_DEP_3)
	v_lshl_or_b32 v9, v9, 9, 0x7c00
	s_or_b32 vcc_lo, s0, vcc_lo
	s_wait_alu 0xfffe
	v_add_co_ci_u32_e32 v11, vcc_lo, 0, v11, vcc_lo
	s_or_b32 vcc_lo, s2, s1
	s_wait_alu 0xfffe
	v_add_co_ci_u32_e32 v5, vcc_lo, 0, v5, vcc_lo
	v_cmp_gt_i32_e32 vcc_lo, 31, v7
	s_wait_alu 0xfffd
	v_cndmask_b32_e32 v11, 0x7c00, v11, vcc_lo
	v_cmp_gt_i32_e32 vcc_lo, 31, v12
	s_wait_alu 0xfffd
	v_cndmask_b32_e32 v5, 0x7c00, v5, vcc_lo
	v_cmp_eq_u32_e32 vcc_lo, 0x40f, v7
	v_lshrrev_b32_e32 v7, 16, v10
	s_wait_alu 0xfffd
	v_cndmask_b32_e32 v2, v11, v2, vcc_lo
	v_cmp_eq_u32_e32 vcc_lo, 0x40f, v12
	s_delay_alu instid0(VALU_DEP_2) | instskip(SKIP_2) | instid1(VALU_DEP_1)
	v_and_or_b32 v2, 0x8000, v8, v2
	s_wait_alu 0xfffd
	v_cndmask_b32_e32 v5, v5, v9, vcc_lo
	v_and_or_b32 v5, 0x8000, v7, v5
	s_delay_alu instid0(VALU_DEP_3) | instskip(SKIP_3) | instid1(VALU_DEP_3)
	v_and_b32_e32 v7, 0xffff, v2
	v_add_co_u32 v2, vcc_lo, v3, s6
	s_wait_alu 0xfffd
	v_add_co_ci_u32_e32 v3, vcc_lo, s7, v4, vcc_lo
	v_lshl_or_b32 v4, v5, 16, v7
	global_store_b32 v[2:3], v4, off
	global_load_b32 v2, v24, s[12:13] offset:896
	v_lshrrev_b32_e32 v3, 16, v6
	s_wait_loadcnt 0x0
	v_lshrrev_b32_e32 v4, 16, v2
	s_delay_alu instid0(VALU_DEP_1) | instskip(SKIP_1) | instid1(VALU_DEP_2)
	v_mul_f16_e32 v5, v3, v4
	v_mul_f16_e32 v4, v6, v4
	v_fmac_f16_e32 v5, v6, v2
	s_delay_alu instid0(VALU_DEP_2) | instskip(NEXT) | instid1(VALU_DEP_2)
	v_fma_f16 v2, v2, v3, -v4
	v_cvt_f32_f16_e32 v3, v5
	s_delay_alu instid0(VALU_DEP_2) | instskip(NEXT) | instid1(VALU_DEP_2)
	v_cvt_f32_f16_e32 v4, v2
	v_cvt_f64_f32_e32 v[2:3], v3
	s_delay_alu instid0(VALU_DEP_2) | instskip(NEXT) | instid1(VALU_DEP_2)
	v_cvt_f64_f32_e32 v[4:5], v4
	v_mul_f64_e32 v[2:3], s[8:9], v[2:3]
	s_delay_alu instid0(VALU_DEP_2) | instskip(NEXT) | instid1(VALU_DEP_2)
	v_mul_f64_e32 v[4:5], s[8:9], v[4:5]
	v_and_or_b32 v2, 0x1ff, v3, v2
	s_delay_alu instid0(VALU_DEP_2)
	v_and_or_b32 v4, 0x1ff, v5, v4
	v_lshrrev_b32_e32 v6, 8, v3
	v_bfe_u32 v8, v3, 20, 11
	v_bfe_u32 v9, v5, 20, 11
	v_cmp_ne_u32_e32 vcc_lo, 0, v2
	v_lshrrev_b32_e32 v7, 8, v5
	v_lshrrev_b32_e32 v5, 16, v5
	v_sub_nc_u32_e32 v10, 0x3f1, v8
	v_sub_nc_u32_e32 v11, 0x3f1, v9
	s_wait_alu 0xfffd
	v_cndmask_b32_e64 v2, 0, 1, vcc_lo
	v_cmp_ne_u32_e32 vcc_lo, 0, v4
	v_add_nc_u32_e32 v9, 0xfffffc10, v9
	s_delay_alu instid0(VALU_DEP_3)
	v_and_or_b32 v12, 0xffe, v6, v2
	s_wait_alu 0xfffd
	v_cndmask_b32_e64 v4, 0, 1, vcc_lo
	v_med3_i32 v2, v10, 0, 13
	v_med3_i32 v10, v11, 0, 13
	v_or_b32_e32 v11, 0x1000, v12
	s_delay_alu instid0(VALU_DEP_4) | instskip(SKIP_1) | instid1(VALU_DEP_3)
	v_and_or_b32 v4, 0xffe, v7, v4
	v_mad_co_u64_u32 v[6:7], null, s4, v23, 0
	v_lshrrev_b32_e32 v14, v2, v11
	s_delay_alu instid0(VALU_DEP_3) | instskip(NEXT) | instid1(VALU_DEP_2)
	v_or_b32_e32 v13, 0x1000, v4
	v_lshlrev_b32_e32 v16, v2, v14
	s_delay_alu instid0(VALU_DEP_2) | instskip(SKIP_1) | instid1(VALU_DEP_3)
	v_lshrrev_b32_e32 v15, v10, v13
	v_mov_b32_e32 v2, v7
	v_cmp_ne_u32_e32 vcc_lo, v16, v11
	s_delay_alu instid0(VALU_DEP_3) | instskip(SKIP_3) | instid1(VALU_DEP_3)
	v_lshlrev_b32_e32 v7, v10, v15
	v_add_nc_u32_e32 v10, 0xfffffc10, v8
	s_wait_alu 0xfffd
	v_cndmask_b32_e64 v11, 0, 1, vcc_lo
	v_cmp_ne_u32_e32 vcc_lo, v7, v13
	v_mad_co_u64_u32 v[7:8], null, s5, v23, v[2:3]
	v_lshl_or_b32 v2, v10, 12, v12
	s_delay_alu instid0(VALU_DEP_4)
	v_or_b32_e32 v8, v14, v11
	s_wait_alu 0xfffd
	v_cndmask_b32_e64 v13, 0, 1, vcc_lo
	v_cmp_gt_i32_e32 vcc_lo, 1, v10
	v_lshl_or_b32 v11, v9, 12, v4
	v_lshrrev_b32_e32 v3, 16, v3
	s_delay_alu instid0(VALU_DEP_4)
	v_or_b32_e32 v13, v15, v13
	s_wait_alu 0xfffd
	v_cndmask_b32_e32 v2, v2, v8, vcc_lo
	v_cmp_gt_i32_e32 vcc_lo, 1, v9
	s_wait_alu 0xfffd
	v_cndmask_b32_e32 v8, v11, v13, vcc_lo
	v_cmp_ne_u32_e32 vcc_lo, 0, v12
	v_and_b32_e32 v12, 7, v2
	v_lshrrev_b32_e32 v2, 2, v2
	s_delay_alu instid0(VALU_DEP_4)
	v_and_b32_e32 v13, 7, v8
	s_wait_alu 0xfffd
	v_cndmask_b32_e64 v11, 0, 1, vcc_lo
	v_cmp_ne_u32_e32 vcc_lo, 0, v4
	v_cmp_eq_u32_e64 s0, 3, v12
	v_lshrrev_b32_e32 v8, 2, v8
	v_cmp_lt_i32_e64 s1, 5, v13
	v_cmp_eq_u32_e64 s2, 3, v13
	s_wait_alu 0xfffd
	v_cndmask_b32_e64 v4, 0, 1, vcc_lo
	v_cmp_lt_i32_e32 vcc_lo, 5, v12
	v_lshl_or_b32 v11, v11, 9, 0x7c00
	s_delay_alu instid0(VALU_DEP_3)
	v_lshl_or_b32 v4, v4, 9, 0x7c00
	s_or_b32 vcc_lo, s0, vcc_lo
	s_wait_alu 0xfffe
	v_add_co_ci_u32_e32 v2, vcc_lo, 0, v2, vcc_lo
	s_or_b32 vcc_lo, s2, s1
	s_wait_alu 0xfffe
	v_add_co_ci_u32_e32 v8, vcc_lo, 0, v8, vcc_lo
	v_cmp_gt_i32_e32 vcc_lo, 31, v10
	s_wait_alu 0xfffd
	v_cndmask_b32_e32 v2, 0x7c00, v2, vcc_lo
	v_cmp_gt_i32_e32 vcc_lo, 31, v9
	s_wait_alu 0xfffd
	v_cndmask_b32_e32 v8, 0x7c00, v8, vcc_lo
	v_cmp_eq_u32_e32 vcc_lo, 0x40f, v10
	s_wait_alu 0xfffd
	v_cndmask_b32_e32 v2, v2, v11, vcc_lo
	v_cmp_eq_u32_e32 vcc_lo, 0x40f, v9
	s_delay_alu instid0(VALU_DEP_2) | instskip(SKIP_2) | instid1(VALU_DEP_1)
	v_and_or_b32 v2, 0x8000, v3, v2
	s_wait_alu 0xfffd
	v_cndmask_b32_e32 v4, v8, v4, vcc_lo
	v_and_or_b32 v4, 0x8000, v5, v4
	s_delay_alu instid0(VALU_DEP_3) | instskip(SKIP_1) | instid1(VALU_DEP_2)
	v_and_b32_e32 v5, 0xffff, v2
	v_lshlrev_b64_e32 v[2:3], 2, v[6:7]
	v_lshl_or_b32 v4, v4, 16, v5
	s_delay_alu instid0(VALU_DEP_2) | instskip(SKIP_1) | instid1(VALU_DEP_3)
	v_add_co_u32 v0, vcc_lo, v0, v2
	s_wait_alu 0xfffd
	v_add_co_ci_u32_e32 v1, vcc_lo, v1, v3, vcc_lo
	global_store_b32 v[0:1], v4, off
.LBB0_15:
	s_nop 0
	s_sendmsg sendmsg(MSG_DEALLOC_VGPRS)
	s_endpgm
	.section	.rodata,"a",@progbits
	.p2align	6, 0x0
	.amdhsa_kernel bluestein_single_back_len238_dim1_half_op_CI_CI
		.amdhsa_group_segment_fixed_size 2856
		.amdhsa_private_segment_fixed_size 0
		.amdhsa_kernarg_size 104
		.amdhsa_user_sgpr_count 2
		.amdhsa_user_sgpr_dispatch_ptr 0
		.amdhsa_user_sgpr_queue_ptr 0
		.amdhsa_user_sgpr_kernarg_segment_ptr 1
		.amdhsa_user_sgpr_dispatch_id 0
		.amdhsa_user_sgpr_private_segment_size 0
		.amdhsa_wavefront_size32 1
		.amdhsa_uses_dynamic_stack 0
		.amdhsa_enable_private_segment 0
		.amdhsa_system_sgpr_workgroup_id_x 1
		.amdhsa_system_sgpr_workgroup_id_y 0
		.amdhsa_system_sgpr_workgroup_id_z 0
		.amdhsa_system_sgpr_workgroup_info 0
		.amdhsa_system_vgpr_workitem_id 0
		.amdhsa_next_free_vgpr 198
		.amdhsa_next_free_sgpr 16
		.amdhsa_reserve_vcc 1
		.amdhsa_float_round_mode_32 0
		.amdhsa_float_round_mode_16_64 0
		.amdhsa_float_denorm_mode_32 3
		.amdhsa_float_denorm_mode_16_64 3
		.amdhsa_fp16_overflow 0
		.amdhsa_workgroup_processor_mode 1
		.amdhsa_memory_ordered 1
		.amdhsa_forward_progress 0
		.amdhsa_round_robin_scheduling 0
		.amdhsa_exception_fp_ieee_invalid_op 0
		.amdhsa_exception_fp_denorm_src 0
		.amdhsa_exception_fp_ieee_div_zero 0
		.amdhsa_exception_fp_ieee_overflow 0
		.amdhsa_exception_fp_ieee_underflow 0
		.amdhsa_exception_fp_ieee_inexact 0
		.amdhsa_exception_int_div_zero 0
	.end_amdhsa_kernel
	.text
.Lfunc_end0:
	.size	bluestein_single_back_len238_dim1_half_op_CI_CI, .Lfunc_end0-bluestein_single_back_len238_dim1_half_op_CI_CI
                                        ; -- End function
	.section	.AMDGPU.csdata,"",@progbits
; Kernel info:
; codeLenInByte = 32236
; NumSgprs: 18
; NumVgprs: 198
; ScratchSize: 0
; MemoryBound: 0
; FloatMode: 240
; IeeeMode: 1
; LDSByteSize: 2856 bytes/workgroup (compile time only)
; SGPRBlocks: 2
; VGPRBlocks: 24
; NumSGPRsForWavesPerEU: 18
; NumVGPRsForWavesPerEU: 198
; Occupancy: 7
; WaveLimiterHint : 1
; COMPUTE_PGM_RSRC2:SCRATCH_EN: 0
; COMPUTE_PGM_RSRC2:USER_SGPR: 2
; COMPUTE_PGM_RSRC2:TRAP_HANDLER: 0
; COMPUTE_PGM_RSRC2:TGID_X_EN: 1
; COMPUTE_PGM_RSRC2:TGID_Y_EN: 0
; COMPUTE_PGM_RSRC2:TGID_Z_EN: 0
; COMPUTE_PGM_RSRC2:TIDIG_COMP_CNT: 0
	.text
	.p2alignl 7, 3214868480
	.fill 96, 4, 3214868480
	.type	__hip_cuid_8d7110961532ffa,@object ; @__hip_cuid_8d7110961532ffa
	.section	.bss,"aw",@nobits
	.globl	__hip_cuid_8d7110961532ffa
__hip_cuid_8d7110961532ffa:
	.byte	0                               ; 0x0
	.size	__hip_cuid_8d7110961532ffa, 1

	.ident	"AMD clang version 19.0.0git (https://github.com/RadeonOpenCompute/llvm-project roc-6.4.0 25133 c7fe45cf4b819c5991fe208aaa96edf142730f1d)"
	.section	".note.GNU-stack","",@progbits
	.addrsig
	.addrsig_sym __hip_cuid_8d7110961532ffa
	.amdgpu_metadata
---
amdhsa.kernels:
  - .args:
      - .actual_access:  read_only
        .address_space:  global
        .offset:         0
        .size:           8
        .value_kind:     global_buffer
      - .actual_access:  read_only
        .address_space:  global
        .offset:         8
        .size:           8
        .value_kind:     global_buffer
      - .actual_access:  read_only
        .address_space:  global
        .offset:         16
        .size:           8
        .value_kind:     global_buffer
      - .actual_access:  read_only
        .address_space:  global
        .offset:         24
        .size:           8
        .value_kind:     global_buffer
      - .actual_access:  read_only
        .address_space:  global
        .offset:         32
        .size:           8
        .value_kind:     global_buffer
      - .offset:         40
        .size:           8
        .value_kind:     by_value
      - .address_space:  global
        .offset:         48
        .size:           8
        .value_kind:     global_buffer
      - .address_space:  global
        .offset:         56
        .size:           8
        .value_kind:     global_buffer
      - .address_space:  global
        .offset:         64
        .size:           8
        .value_kind:     global_buffer
      - .address_space:  global
        .offset:         72
        .size:           8
        .value_kind:     global_buffer
      - .offset:         80
        .size:           4
        .value_kind:     by_value
      - .address_space:  global
        .offset:         88
        .size:           8
        .value_kind:     global_buffer
      - .address_space:  global
        .offset:         96
        .size:           8
        .value_kind:     global_buffer
    .group_segment_fixed_size: 2856
    .kernarg_segment_align: 8
    .kernarg_segment_size: 104
    .language:       OpenCL C
    .language_version:
      - 2
      - 0
    .max_flat_workgroup_size: 51
    .name:           bluestein_single_back_len238_dim1_half_op_CI_CI
    .private_segment_fixed_size: 0
    .sgpr_count:     18
    .sgpr_spill_count: 0
    .symbol:         bluestein_single_back_len238_dim1_half_op_CI_CI.kd
    .uniform_work_group_size: 1
    .uses_dynamic_stack: false
    .vgpr_count:     198
    .vgpr_spill_count: 0
    .wavefront_size: 32
    .workgroup_processor_mode: 1
amdhsa.target:   amdgcn-amd-amdhsa--gfx1201
amdhsa.version:
  - 1
  - 2
...

	.end_amdgpu_metadata
